;; amdgpu-corpus repo=ROCm/hip-tests kind=compiled arch=gfx1250 opt=O3
	.amdgcn_target "amdgcn-amd-amdhsa--gfx1250"
	.amdhsa_code_object_version 6
	.text
	.p2align	2                               ; -- Begin function __ockl_printf_append_args
	.type	__ockl_printf_append_args,@function
__ockl_printf_append_args:              ; @__ockl_printf_append_args
; %bb.0:
	s_wait_loadcnt_dscnt 0x0
	s_wait_kmcnt 0x0
	s_load_b64 s[2:3], s[8:9], 0x50
	v_mbcnt_lo_u32_b32 v5, -1, 0
	v_mov_b64_e32 v[8:9], 0
	s_delay_alu instid0(VALU_DEP_2) | instskip(NEXT) | instid1(VALU_DEP_1)
	v_readfirstlane_b32 s0, v5
	v_cmp_eq_u32_e64 s0, s0, v5
	s_and_saveexec_b32 s1, s0
	s_cbranch_execz .LBB0_6
; %bb.1:
	v_mov_b32_e32 v6, 0
	s_mov_b32 s4, exec_lo
	s_wait_kmcnt 0x0
	global_load_b64 v[10:11], v6, s[2:3] offset:24 scope:SCOPE_SYS
	s_wait_loadcnt 0x0
	global_inv scope:SCOPE_SYS
	s_clause 0x1
	global_load_b64 v[8:9], v6, s[2:3] offset:40
	global_load_b64 v[12:13], v6, s[2:3]
	s_wait_loadcnt 0x1
	v_and_b32_e32 v8, v8, v10
	v_and_b32_e32 v9, v9, v11
	s_delay_alu instid0(VALU_DEP_1) | instskip(SKIP_1) | instid1(VALU_DEP_1)
	v_mul_u64_e32 v[8:9], 24, v[8:9]
	s_wait_loadcnt 0x0
	v_add_nc_u64_e32 v[8:9], v[12:13], v[8:9]
	global_load_b64 v[8:9], v[8:9], off scope:SCOPE_SYS
	s_wait_xcnt 0x0
	s_wait_loadcnt 0x0
	global_atomic_cmpswap_b64 v[8:9], v6, v[8:11], s[2:3] offset:24 th:TH_ATOMIC_RETURN scope:SCOPE_SYS
	s_wait_loadcnt 0x0
	global_inv scope:SCOPE_SYS
	s_wait_xcnt 0x0
	v_cmpx_ne_u64_e64 v[8:9], v[10:11]
	s_cbranch_execz .LBB0_5
; %bb.2:
	s_mov_b32 s5, 0
.LBB0_3:                                ; =>This Inner Loop Header: Depth=1
	s_sleep 1
	s_clause 0x1
	global_load_b64 v[12:13], v6, s[2:3] offset:40
	global_load_b64 v[14:15], v6, s[2:3]
	v_mov_b64_e32 v[10:11], v[8:9]
	s_wait_loadcnt 0x1
	s_delay_alu instid0(VALU_DEP_1) | instskip(SKIP_1) | instid1(VALU_DEP_1)
	v_and_b32_e32 v7, v12, v10
	s_wait_loadcnt 0x0
	v_mad_nc_u64_u32 v[8:9], v7, 24, v[14:15]
	s_delay_alu instid0(VALU_DEP_3) | instskip(NEXT) | instid1(VALU_DEP_1)
	v_and_b32_e32 v7, v13, v11
	v_mad_u32 v9, v7, 24, v9
	global_load_b64 v[8:9], v[8:9], off scope:SCOPE_SYS
	s_wait_xcnt 0x0
	s_wait_loadcnt 0x0
	global_atomic_cmpswap_b64 v[8:9], v6, v[8:11], s[2:3] offset:24 th:TH_ATOMIC_RETURN scope:SCOPE_SYS
	s_wait_loadcnt 0x0
	global_inv scope:SCOPE_SYS
	v_cmp_eq_u64_e32 vcc_lo, v[8:9], v[10:11]
	s_or_b32 s5, vcc_lo, s5
	s_wait_xcnt 0x0
	s_and_not1_b32 exec_lo, exec_lo, s5
	s_cbranch_execnz .LBB0_3
; %bb.4:
	s_or_b32 exec_lo, exec_lo, s5
.LBB0_5:
	s_delay_alu instid0(SALU_CYCLE_1)
	s_or_b32 exec_lo, exec_lo, s4
.LBB0_6:
	s_delay_alu instid0(SALU_CYCLE_1)
	s_or_b32 exec_lo, exec_lo, s1
	v_readfirstlane_b32 s4, v8
	v_mov_b32_e32 v7, 0
	v_readfirstlane_b32 s5, v9
	s_mov_b32 s1, exec_lo
	s_wait_kmcnt 0x0
	s_clause 0x1
	global_load_b64 v[14:15], v7, s[2:3] offset:40
	global_load_b128 v[10:13], v7, s[2:3]
	s_wait_loadcnt 0x1
	v_and_b32_e32 v16, s4, v14
	v_and_b32_e32 v17, s5, v15
	s_delay_alu instid0(VALU_DEP_1) | instskip(SKIP_1) | instid1(VALU_DEP_1)
	v_mul_u64_e32 v[8:9], 24, v[16:17]
	s_wait_loadcnt 0x0
	v_add_nc_u64_e32 v[14:15], v[10:11], v[8:9]
	s_wait_xcnt 0x0
	s_and_saveexec_b32 s6, s0
	s_cbranch_execz .LBB0_8
; %bb.7:
	v_mov_b64_e32 v[8:9], 0x100000002
	v_mov_b32_e32 v6, s1
	global_store_b128 v[14:15], v[6:9], off offset:8
.LBB0_8:
	s_wait_xcnt 0x0
	s_or_b32 exec_lo, exec_lo, s6
	v_lshlrev_b64_e32 v[8:9], 12, v[16:17]
	v_or_b32_e32 v6, 2, v0
	v_cmp_eq_u32_e32 vcc_lo, 0, v4
	s_mov_b32 s8, 0
	s_delay_alu instid0(SALU_CYCLE_1) | instskip(SKIP_1) | instid1(VALU_DEP_3)
	s_mov_b32 s10, s8
	s_mov_b32 s11, s8
	v_add_nc_u64_e32 v[8:9], v[12:13], v[8:9]
	v_dual_cndmask_b32 v0, v6, v0, vcc_lo :: v_dual_lshlrev_b32 v6, 6, v5
	s_mov_b32 s9, s8
	v_mov_b64_e32 v[18:19], s[10:11]
	v_mov_b64_e32 v[16:17], s[8:9]
	s_delay_alu instid0(VALU_DEP_3)
	v_and_or_b32 v0, 0xffffff1f, v0, 32
	v_readfirstlane_b32 s6, v8
	v_readfirstlane_b32 s7, v9
	s_clause 0x3
	global_store_b128 v6, v[0:3], s[6:7]
	global_store_b128 v6, v[16:19], s[6:7] offset:16
	global_store_b128 v6, v[16:19], s[6:7] offset:32
	;; [unrolled: 1-line block ×3, first 2 shown]
	s_wait_xcnt 0x0
	s_and_saveexec_b32 s1, s0
	s_cbranch_execz .LBB0_16
; %bb.9:
	v_dual_mov_b32 v12, 0 :: v_dual_mov_b32 v17, s5
	s_mov_b32 s6, exec_lo
	s_clause 0x1
	global_load_b64 v[18:19], v12, s[2:3] offset:32 scope:SCOPE_SYS
	global_load_b64 v[0:1], v12, s[2:3] offset:40
	s_wait_loadcnt 0x0
	v_dual_mov_b32 v16, s4 :: v_dual_bitop2_b32 v1, s5, v1 bitop3:0x40
	v_and_b32_e32 v0, s4, v0
	s_delay_alu instid0(VALU_DEP_1) | instskip(NEXT) | instid1(VALU_DEP_1)
	v_mul_u64_e32 v[0:1], 24, v[0:1]
	v_add_nc_u64_e32 v[4:5], v[10:11], v[0:1]
	global_store_b64 v[4:5], v[18:19], off
	global_wb scope:SCOPE_SYS
	s_wait_storecnt 0x0
	s_wait_xcnt 0x0
	global_atomic_cmpswap_b64 v[2:3], v12, v[16:19], s[2:3] offset:32 th:TH_ATOMIC_RETURN scope:SCOPE_SYS
	s_wait_loadcnt 0x0
	v_cmpx_ne_u64_e64 v[2:3], v[18:19]
	s_cbranch_execz .LBB0_12
; %bb.10:
	s_mov_b32 s7, 0
.LBB0_11:                               ; =>This Inner Loop Header: Depth=1
	v_dual_mov_b32 v0, s4 :: v_dual_mov_b32 v1, s5
	s_sleep 1
	global_store_b64 v[4:5], v[2:3], off
	global_wb scope:SCOPE_SYS
	s_wait_storecnt 0x0
	s_wait_xcnt 0x0
	global_atomic_cmpswap_b64 v[0:1], v12, v[0:3], s[2:3] offset:32 th:TH_ATOMIC_RETURN scope:SCOPE_SYS
	s_wait_loadcnt 0x0
	v_cmp_eq_u64_e32 vcc_lo, v[0:1], v[2:3]
	v_mov_b64_e32 v[2:3], v[0:1]
	s_or_b32 s7, vcc_lo, s7
	s_delay_alu instid0(SALU_CYCLE_1)
	s_and_not1_b32 exec_lo, exec_lo, s7
	s_cbranch_execnz .LBB0_11
.LBB0_12:
	s_or_b32 exec_lo, exec_lo, s6
	v_mov_b32_e32 v3, 0
	s_mov_b32 s7, exec_lo
	s_mov_b32 s6, exec_lo
	v_mbcnt_lo_u32_b32 v2, s7, 0
	global_load_b64 v[0:1], v3, s[2:3] offset:16
	s_wait_xcnt 0x0
	v_cmpx_eq_u32_e32 0, v2
	s_cbranch_execz .LBB0_14
; %bb.13:
	s_bcnt1_i32_b32 s7, s7
	s_delay_alu instid0(SALU_CYCLE_1)
	v_mov_b32_e32 v2, s7
	global_wb scope:SCOPE_SYS
	s_wait_loadcnt 0x0
	s_wait_storecnt 0x0
	global_atomic_add_u64 v[0:1], v[2:3], off offset:8 scope:SCOPE_SYS
.LBB0_14:
	s_wait_xcnt 0x0
	s_or_b32 exec_lo, exec_lo, s6
	s_wait_loadcnt 0x0
	global_load_b64 v[2:3], v[0:1], off offset:16
	s_wait_loadcnt 0x0
	v_cmp_eq_u64_e32 vcc_lo, 0, v[2:3]
	s_cbranch_vccnz .LBB0_16
; %bb.15:
	global_load_b32 v0, v[0:1], off offset:24
	s_wait_xcnt 0x0
	v_mov_b32_e32 v1, 0
	s_wait_loadcnt 0x0
	v_readfirstlane_b32 s6, v0
	global_wb scope:SCOPE_SYS
	s_wait_storecnt 0x0
	global_store_b64 v[2:3], v[0:1], off scope:SCOPE_SYS
	s_and_b32 m0, s6, 0xffffff
	s_sendmsg sendmsg(MSG_INTERRUPT)
.LBB0_16:
	s_wait_xcnt 0x0
	s_or_b32 exec_lo, exec_lo, s1
	v_add_nc_u64_e32 v[0:1], v[8:9], v[6:7]
	s_branch .LBB0_20
.LBB0_17:                               ;   in Loop: Header=BB0_20 Depth=1
	s_wait_xcnt 0x0
	s_or_b32 exec_lo, exec_lo, s1
	s_delay_alu instid0(VALU_DEP_1)
	v_readfirstlane_b32 s1, v2
	s_cmp_eq_u32 s1, 0
	s_cbranch_scc1 .LBB0_19
; %bb.18:                               ;   in Loop: Header=BB0_20 Depth=1
	s_sleep 1
	s_cbranch_execnz .LBB0_20
	s_branch .LBB0_22
.LBB0_19:
	s_branch .LBB0_22
.LBB0_20:                               ; =>This Inner Loop Header: Depth=1
	v_mov_b32_e32 v2, 1
	s_and_saveexec_b32 s1, s0
	s_cbranch_execz .LBB0_17
; %bb.21:                               ;   in Loop: Header=BB0_20 Depth=1
	global_load_b32 v2, v[14:15], off offset:20 scope:SCOPE_SYS
	s_wait_loadcnt 0x0
	global_inv scope:SCOPE_SYS
	v_and_b32_e32 v2, 1, v2
	s_branch .LBB0_17
.LBB0_22:
	global_load_b64 v[0:1], v[0:1], off
	s_wait_xcnt 0x0
	s_and_saveexec_b32 s6, s0
	s_cbranch_execz .LBB0_26
; %bb.23:
	v_mov_b32_e32 v8, 0
	s_clause 0x2
	global_load_b64 v[2:3], v8, s[2:3] offset:40
	global_load_b64 v[12:13], v8, s[2:3] offset:24 scope:SCOPE_SYS
	global_load_b64 v[4:5], v8, s[2:3]
	s_wait_loadcnt 0x2
	v_readfirstlane_b32 s8, v2
	v_readfirstlane_b32 s9, v3
	s_add_nc_u64 s[0:1], s[8:9], 1
	s_delay_alu instid0(SALU_CYCLE_1) | instskip(NEXT) | instid1(SALU_CYCLE_1)
	s_add_nc_u64 s[4:5], s[0:1], s[4:5]
	s_cmp_eq_u64 s[4:5], 0
	s_cselect_b32 s1, s1, s5
	s_cselect_b32 s0, s0, s4
	v_mov_b32_e32 v11, s1
	s_and_b64 s[4:5], s[0:1], s[8:9]
	v_mov_b32_e32 v10, s0
	s_mul_u64 s[4:5], s[4:5], 24
	s_wait_loadcnt 0x0
	v_add_nc_u64_e32 v[6:7], s[4:5], v[4:5]
	global_store_b64 v[6:7], v[12:13], off
	global_wb scope:SCOPE_SYS
	s_wait_storecnt 0x0
	s_wait_xcnt 0x0
	global_atomic_cmpswap_b64 v[4:5], v8, v[10:13], s[2:3] offset:24 th:TH_ATOMIC_RETURN scope:SCOPE_SYS
	s_wait_loadcnt 0x0
	v_cmp_ne_u64_e32 vcc_lo, v[4:5], v[12:13]
	s_and_b32 exec_lo, exec_lo, vcc_lo
	s_cbranch_execz .LBB0_26
; %bb.24:
	s_mov_b32 s4, 0
.LBB0_25:                               ; =>This Inner Loop Header: Depth=1
	v_dual_mov_b32 v2, s0 :: v_dual_mov_b32 v3, s1
	s_sleep 1
	global_store_b64 v[6:7], v[4:5], off
	global_wb scope:SCOPE_SYS
	s_wait_storecnt 0x0
	s_wait_xcnt 0x0
	global_atomic_cmpswap_b64 v[2:3], v8, v[2:5], s[2:3] offset:24 th:TH_ATOMIC_RETURN scope:SCOPE_SYS
	s_wait_loadcnt 0x0
	v_cmp_eq_u64_e32 vcc_lo, v[2:3], v[4:5]
	v_mov_b64_e32 v[4:5], v[2:3]
	s_or_b32 s4, vcc_lo, s4
	s_delay_alu instid0(SALU_CYCLE_1)
	s_and_not1_b32 exec_lo, exec_lo, s4
	s_cbranch_execnz .LBB0_25
.LBB0_26:
	s_or_b32 exec_lo, exec_lo, s6
	s_wait_loadcnt 0x0
	s_wait_kmcnt 0x0
	s_set_pc_i64 s[30:31]
.Lfunc_end0:
	.size	__ockl_printf_append_args, .Lfunc_end0-__ockl_printf_append_args
                                        ; -- End function
	.set .L__ockl_printf_append_args.num_vgpr, 20
	.set .L__ockl_printf_append_args.num_agpr, 0
	.set .L__ockl_printf_append_args.numbered_sgpr, 32
	.set .L__ockl_printf_append_args.num_named_barrier, 0
	.set .L__ockl_printf_append_args.private_seg_size, 0
	.set .L__ockl_printf_append_args.uses_vcc, 1
	.set .L__ockl_printf_append_args.uses_flat_scratch, 0
	.set .L__ockl_printf_append_args.has_dyn_sized_stack, 0
	.set .L__ockl_printf_append_args.has_recursion, 0
	.set .L__ockl_printf_append_args.has_indirect_call, 0
	.section	.AMDGPU.csdata,"",@progbits
; Function info:
; codeLenInByte = 1460
; TotalNumSgprs: 34
; NumVgprs: 20
; ScratchSize: 0
; MemoryBound: 0
	.text
	.p2align	2                               ; -- Begin function __ockl_printf_begin
	.type	__ockl_printf_begin,@function
__ockl_printf_begin:                    ; @__ockl_printf_begin
; %bb.0:
	s_wait_loadcnt_dscnt 0x0
	s_wait_kmcnt 0x0
	s_load_b64 s[2:3], s[8:9], 0x50
	v_mbcnt_lo_u32_b32 v12, -1, 0
	v_mov_b64_e32 v[2:3], 0
	s_delay_alu instid0(VALU_DEP_2) | instskip(NEXT) | instid1(VALU_DEP_1)
	v_readfirstlane_b32 s0, v12
	v_cmp_eq_u32_e64 s0, s0, v12
	s_and_saveexec_b32 s1, s0
	s_cbranch_execz .LBB1_6
; %bb.1:
	v_mov_b32_e32 v0, 0
	s_mov_b32 s4, exec_lo
	s_wait_kmcnt 0x0
	global_load_b64 v[4:5], v0, s[2:3] offset:24 scope:SCOPE_SYS
	s_wait_loadcnt 0x0
	global_inv scope:SCOPE_SYS
	s_clause 0x1
	global_load_b64 v[2:3], v0, s[2:3] offset:40
	global_load_b64 v[6:7], v0, s[2:3]
	s_wait_loadcnt 0x1
	v_and_b32_e32 v2, v2, v4
	v_and_b32_e32 v3, v3, v5
	s_delay_alu instid0(VALU_DEP_1) | instskip(SKIP_1) | instid1(VALU_DEP_1)
	v_mul_u64_e32 v[2:3], 24, v[2:3]
	s_wait_loadcnt 0x0
	v_add_nc_u64_e32 v[2:3], v[6:7], v[2:3]
	global_load_b64 v[2:3], v[2:3], off scope:SCOPE_SYS
	s_wait_xcnt 0x0
	s_wait_loadcnt 0x0
	global_atomic_cmpswap_b64 v[2:3], v0, v[2:5], s[2:3] offset:24 th:TH_ATOMIC_RETURN scope:SCOPE_SYS
	s_wait_loadcnt 0x0
	global_inv scope:SCOPE_SYS
	s_wait_xcnt 0x0
	v_cmpx_ne_u64_e64 v[2:3], v[4:5]
	s_cbranch_execz .LBB1_5
; %bb.2:
	s_mov_b32 s5, 0
.LBB1_3:                                ; =>This Inner Loop Header: Depth=1
	s_sleep 1
	s_clause 0x1
	global_load_b64 v[6:7], v0, s[2:3] offset:40
	global_load_b64 v[8:9], v0, s[2:3]
	v_mov_b64_e32 v[4:5], v[2:3]
	s_wait_loadcnt 0x1
	s_delay_alu instid0(VALU_DEP_1) | instskip(SKIP_1) | instid1(VALU_DEP_1)
	v_and_b32_e32 v1, v6, v4
	s_wait_loadcnt 0x0
	v_mad_nc_u64_u32 v[2:3], v1, 24, v[8:9]
	s_delay_alu instid0(VALU_DEP_3) | instskip(NEXT) | instid1(VALU_DEP_1)
	v_and_b32_e32 v1, v7, v5
	v_mad_u32 v3, v1, 24, v3
	global_load_b64 v[2:3], v[2:3], off scope:SCOPE_SYS
	s_wait_xcnt 0x0
	s_wait_loadcnt 0x0
	global_atomic_cmpswap_b64 v[2:3], v0, v[2:5], s[2:3] offset:24 th:TH_ATOMIC_RETURN scope:SCOPE_SYS
	s_wait_loadcnt 0x0
	global_inv scope:SCOPE_SYS
	v_cmp_eq_u64_e32 vcc_lo, v[2:3], v[4:5]
	s_or_b32 s5, vcc_lo, s5
	s_wait_xcnt 0x0
	s_and_not1_b32 exec_lo, exec_lo, s5
	s_cbranch_execnz .LBB1_3
; %bb.4:
	s_or_b32 exec_lo, exec_lo, s5
.LBB1_5:
	s_delay_alu instid0(SALU_CYCLE_1)
	s_or_b32 exec_lo, exec_lo, s4
.LBB1_6:
	s_delay_alu instid0(SALU_CYCLE_1)
	s_or_b32 exec_lo, exec_lo, s1
	v_readfirstlane_b32 s4, v2
	v_mov_b32_e32 v1, 0
	v_readfirstlane_b32 s5, v3
	s_mov_b32 s1, exec_lo
	s_wait_kmcnt 0x0
	s_clause 0x1
	global_load_b64 v[8:9], v1, s[2:3] offset:40
	global_load_b128 v[4:7], v1, s[2:3]
	s_wait_loadcnt 0x1
	v_and_b32_e32 v10, s4, v8
	v_and_b32_e32 v11, s5, v9
	s_delay_alu instid0(VALU_DEP_1) | instskip(SKIP_1) | instid1(VALU_DEP_1)
	v_mul_u64_e32 v[2:3], 24, v[10:11]
	s_wait_loadcnt 0x0
	v_add_nc_u64_e32 v[8:9], v[4:5], v[2:3]
	s_wait_xcnt 0x0
	s_and_saveexec_b32 s6, s0
	s_cbranch_execz .LBB1_8
; %bb.7:
	v_mov_b64_e32 v[2:3], 0x100000002
	v_mov_b32_e32 v0, s1
	global_store_b128 v[8:9], v[0:3], off offset:8
.LBB1_8:
	s_wait_xcnt 0x0
	s_or_b32 exec_lo, exec_lo, s6
	v_lshlrev_b64_e32 v[2:3], 12, v[10:11]
	s_mov_b32 s8, 0
	v_dual_lshlrev_b32 v0, 6, v12 :: v_dual_mov_b32 v10, 33
	s_mov_b32 s10, s8
	s_mov_b32 s11, s8
	;; [unrolled: 1-line block ×3, first 2 shown]
	s_delay_alu instid0(VALU_DEP_2)
	v_add_nc_u64_e32 v[6:7], v[6:7], v[2:3]
	v_mov_b64_e32 v[16:17], s[10:11]
	v_mov_b64_e32 v[14:15], s[8:9]
	v_dual_mov_b32 v11, v1 :: v_dual_mov_b32 v12, v1
	v_mov_b32_e32 v13, v1
	v_readfirstlane_b32 s6, v6
	v_readfirstlane_b32 s7, v7
	s_clause 0x3
	global_store_b128 v0, v[10:13], s[6:7]
	global_store_b128 v0, v[14:17], s[6:7] offset:16
	global_store_b128 v0, v[14:17], s[6:7] offset:32
	;; [unrolled: 1-line block ×3, first 2 shown]
	s_wait_xcnt 0x0
	s_and_saveexec_b32 s1, s0
	s_cbranch_execz .LBB1_16
; %bb.9:
	v_dual_mov_b32 v12, 0 :: v_dual_mov_b32 v15, s5
	s_mov_b32 s6, exec_lo
	s_clause 0x1
	global_load_b64 v[16:17], v12, s[2:3] offset:32 scope:SCOPE_SYS
	global_load_b64 v[2:3], v12, s[2:3] offset:40
	s_wait_loadcnt 0x0
	v_dual_mov_b32 v14, s4 :: v_dual_bitop2_b32 v3, s5, v3 bitop3:0x40
	v_and_b32_e32 v2, s4, v2
	s_delay_alu instid0(VALU_DEP_1) | instskip(NEXT) | instid1(VALU_DEP_1)
	v_mul_u64_e32 v[2:3], 24, v[2:3]
	v_add_nc_u64_e32 v[10:11], v[4:5], v[2:3]
	global_store_b64 v[10:11], v[16:17], off
	global_wb scope:SCOPE_SYS
	s_wait_storecnt 0x0
	s_wait_xcnt 0x0
	global_atomic_cmpswap_b64 v[4:5], v12, v[14:17], s[2:3] offset:32 th:TH_ATOMIC_RETURN scope:SCOPE_SYS
	s_wait_loadcnt 0x0
	v_cmpx_ne_u64_e64 v[4:5], v[16:17]
	s_cbranch_execz .LBB1_12
; %bb.10:
	s_mov_b32 s7, 0
.LBB1_11:                               ; =>This Inner Loop Header: Depth=1
	v_dual_mov_b32 v2, s4 :: v_dual_mov_b32 v3, s5
	s_sleep 1
	global_store_b64 v[10:11], v[4:5], off
	global_wb scope:SCOPE_SYS
	s_wait_storecnt 0x0
	s_wait_xcnt 0x0
	global_atomic_cmpswap_b64 v[2:3], v12, v[2:5], s[2:3] offset:32 th:TH_ATOMIC_RETURN scope:SCOPE_SYS
	s_wait_loadcnt 0x0
	v_cmp_eq_u64_e32 vcc_lo, v[2:3], v[4:5]
	v_mov_b64_e32 v[4:5], v[2:3]
	s_or_b32 s7, vcc_lo, s7
	s_delay_alu instid0(SALU_CYCLE_1)
	s_and_not1_b32 exec_lo, exec_lo, s7
	s_cbranch_execnz .LBB1_11
.LBB1_12:
	s_or_b32 exec_lo, exec_lo, s6
	v_mov_b32_e32 v5, 0
	s_mov_b32 s7, exec_lo
	s_mov_b32 s6, exec_lo
	v_mbcnt_lo_u32_b32 v4, s7, 0
	global_load_b64 v[2:3], v5, s[2:3] offset:16
	s_wait_xcnt 0x0
	v_cmpx_eq_u32_e32 0, v4
	s_cbranch_execz .LBB1_14
; %bb.13:
	s_bcnt1_i32_b32 s7, s7
	s_delay_alu instid0(SALU_CYCLE_1)
	v_mov_b32_e32 v4, s7
	global_wb scope:SCOPE_SYS
	s_wait_loadcnt 0x0
	s_wait_storecnt 0x0
	global_atomic_add_u64 v[2:3], v[4:5], off offset:8 scope:SCOPE_SYS
.LBB1_14:
	s_wait_xcnt 0x0
	s_or_b32 exec_lo, exec_lo, s6
	s_wait_loadcnt 0x0
	global_load_b64 v[4:5], v[2:3], off offset:16
	s_wait_loadcnt 0x0
	v_cmp_eq_u64_e32 vcc_lo, 0, v[4:5]
	s_cbranch_vccnz .LBB1_16
; %bb.15:
	global_load_b32 v2, v[2:3], off offset:24
	s_wait_xcnt 0x0
	v_mov_b32_e32 v3, 0
	s_wait_loadcnt 0x0
	v_readfirstlane_b32 s6, v2
	global_wb scope:SCOPE_SYS
	s_wait_storecnt 0x0
	global_store_b64 v[4:5], v[2:3], off scope:SCOPE_SYS
	s_and_b32 m0, s6, 0xffffff
	s_sendmsg sendmsg(MSG_INTERRUPT)
.LBB1_16:
	s_wait_xcnt 0x0
	s_or_b32 exec_lo, exec_lo, s1
	v_add_nc_u64_e32 v[0:1], v[6:7], v[0:1]
	s_branch .LBB1_20
.LBB1_17:                               ;   in Loop: Header=BB1_20 Depth=1
	s_wait_xcnt 0x0
	s_or_b32 exec_lo, exec_lo, s1
	s_delay_alu instid0(VALU_DEP_1)
	v_readfirstlane_b32 s1, v2
	s_cmp_eq_u32 s1, 0
	s_cbranch_scc1 .LBB1_19
; %bb.18:                               ;   in Loop: Header=BB1_20 Depth=1
	s_sleep 1
	s_cbranch_execnz .LBB1_20
	s_branch .LBB1_22
.LBB1_19:
	s_branch .LBB1_22
.LBB1_20:                               ; =>This Inner Loop Header: Depth=1
	v_mov_b32_e32 v2, 1
	s_and_saveexec_b32 s1, s0
	s_cbranch_execz .LBB1_17
; %bb.21:                               ;   in Loop: Header=BB1_20 Depth=1
	global_load_b32 v2, v[8:9], off offset:20 scope:SCOPE_SYS
	s_wait_loadcnt 0x0
	global_inv scope:SCOPE_SYS
	v_and_b32_e32 v2, 1, v2
	s_branch .LBB1_17
.LBB1_22:
	global_load_b64 v[0:1], v[0:1], off
	s_wait_xcnt 0x0
	s_and_saveexec_b32 s6, s0
	s_cbranch_execz .LBB1_26
; %bb.23:
	v_mov_b32_e32 v8, 0
	s_clause 0x2
	global_load_b64 v[2:3], v8, s[2:3] offset:40
	global_load_b64 v[12:13], v8, s[2:3] offset:24 scope:SCOPE_SYS
	global_load_b64 v[4:5], v8, s[2:3]
	s_wait_loadcnt 0x2
	v_readfirstlane_b32 s8, v2
	v_readfirstlane_b32 s9, v3
	s_add_nc_u64 s[0:1], s[8:9], 1
	s_delay_alu instid0(SALU_CYCLE_1) | instskip(NEXT) | instid1(SALU_CYCLE_1)
	s_add_nc_u64 s[4:5], s[0:1], s[4:5]
	s_cmp_eq_u64 s[4:5], 0
	s_cselect_b32 s1, s1, s5
	s_cselect_b32 s0, s0, s4
	v_mov_b32_e32 v11, s1
	s_and_b64 s[4:5], s[0:1], s[8:9]
	v_mov_b32_e32 v10, s0
	s_mul_u64 s[4:5], s[4:5], 24
	s_wait_loadcnt 0x0
	v_add_nc_u64_e32 v[6:7], s[4:5], v[4:5]
	global_store_b64 v[6:7], v[12:13], off
	global_wb scope:SCOPE_SYS
	s_wait_storecnt 0x0
	s_wait_xcnt 0x0
	global_atomic_cmpswap_b64 v[4:5], v8, v[10:13], s[2:3] offset:24 th:TH_ATOMIC_RETURN scope:SCOPE_SYS
	s_wait_loadcnt 0x0
	v_cmp_ne_u64_e32 vcc_lo, v[4:5], v[12:13]
	s_and_b32 exec_lo, exec_lo, vcc_lo
	s_cbranch_execz .LBB1_26
; %bb.24:
	s_mov_b32 s4, 0
.LBB1_25:                               ; =>This Inner Loop Header: Depth=1
	v_dual_mov_b32 v2, s0 :: v_dual_mov_b32 v3, s1
	s_sleep 1
	global_store_b64 v[6:7], v[4:5], off
	global_wb scope:SCOPE_SYS
	s_wait_storecnt 0x0
	s_wait_xcnt 0x0
	global_atomic_cmpswap_b64 v[2:3], v8, v[2:5], s[2:3] offset:24 th:TH_ATOMIC_RETURN scope:SCOPE_SYS
	s_wait_loadcnt 0x0
	v_cmp_eq_u64_e32 vcc_lo, v[2:3], v[4:5]
	v_mov_b64_e32 v[4:5], v[2:3]
	s_or_b32 s4, vcc_lo, s4
	s_delay_alu instid0(SALU_CYCLE_1)
	s_and_not1_b32 exec_lo, exec_lo, s4
	s_cbranch_execnz .LBB1_25
.LBB1_26:
	s_or_b32 exec_lo, exec_lo, s6
	s_wait_loadcnt 0x0
	s_wait_kmcnt 0x0
	s_set_pc_i64 s[30:31]
.Lfunc_end1:
	.size	__ockl_printf_begin, .Lfunc_end1-__ockl_printf_begin
                                        ; -- End function
	.set .L__ockl_printf_begin.num_vgpr, 18
	.set .L__ockl_printf_begin.num_agpr, 0
	.set .L__ockl_printf_begin.numbered_sgpr, 32
	.set .L__ockl_printf_begin.num_named_barrier, 0
	.set .L__ockl_printf_begin.private_seg_size, 0
	.set .L__ockl_printf_begin.uses_vcc, 1
	.set .L__ockl_printf_begin.uses_flat_scratch, 0
	.set .L__ockl_printf_begin.has_dyn_sized_stack, 0
	.set .L__ockl_printf_begin.has_recursion, 0
	.set .L__ockl_printf_begin.has_indirect_call, 0
	.section	.AMDGPU.csdata,"",@progbits
; Function info:
; codeLenInByte = 1448
; TotalNumSgprs: 34
; NumVgprs: 18
; ScratchSize: 0
; MemoryBound: 0
	.text
	.p2align	2                               ; -- Begin function __ockl_printf_append_string_n
	.type	__ockl_printf_append_string_n,@function
__ockl_printf_append_string_n:          ; @__ockl_printf_append_string_n
; %bb.0:
	s_wait_loadcnt_dscnt 0x0
	s_wait_kmcnt 0x0
	v_dual_mov_b32 v7, v3 :: v_dual_mov_b32 v6, v2
                                        ; kill: def $vgpr1 killed $vgpr1 def $vgpr0
	v_mov_b32_e32 v2, v0
	v_mbcnt_lo_u32_b32 v28, -1, 0
	s_mov_b32 s0, exec_lo
	s_delay_alu instid0(VALU_DEP_3)
	v_cmpx_ne_u64_e32 0, v[6:7]
	s_xor_b32 s6, exec_lo, s0
	s_cbranch_execz .LBB2_86
; %bb.1:
	s_load_b64 s[2:3], s[8:9], 0x50
	v_mov_b64_e32 v[10:11], 0x100000002
	v_dual_mov_b32 v9, 0 :: v_dual_bitop2_b32 v30, 2, v2 bitop3:0x40
	v_and_b32_e32 v0, -3, v2
	s_mov_b32 s10, 0
	s_mov_b32 s7, 0
	s_branch .LBB2_3
.LBB2_2:                                ;   in Loop: Header=BB2_3 Depth=1
	s_or_b32 exec_lo, exec_lo, s11
	v_sub_nc_u64_e32 v[4:5], v[4:5], v[32:33]
	v_add_nc_u64_e32 v[6:7], v[6:7], v[32:33]
	s_delay_alu instid0(VALU_DEP_2) | instskip(SKIP_1) | instid1(SALU_CYCLE_1)
	v_cmp_eq_u64_e32 vcc_lo, 0, v[4:5]
	s_or_b32 s7, vcc_lo, s7
	s_and_not1_b32 exec_lo, exec_lo, s7
	s_cbranch_execz .LBB2_85
.LBB2_3:                                ; =>This Loop Header: Depth=1
                                        ;     Child Loop BB2_6 Depth 2
                                        ;     Child Loop BB2_14 Depth 2
	;; [unrolled: 1-line block ×11, first 2 shown]
	v_min_u64 v[32:33], v[4:5], 56
	s_delay_alu instid0(VALU_DEP_3)
	v_add_nc_u64_e32 v[14:15], 8, v[6:7]
	s_mov_b32 s0, exec_lo
	v_cmpx_gt_u64_e32 8, v[4:5]
	s_xor_b32 s4, exec_lo, s0
	s_cbranch_execz .LBB2_9
; %bb.4:                                ;   in Loop: Header=BB2_3 Depth=1
	v_mov_b64_e32 v[2:3], 0
	s_mov_b32 s5, exec_lo
	v_cmpx_ne_u64_e32 0, v[4:5]
	s_cbranch_execz .LBB2_8
; %bb.5:                                ;   in Loop: Header=BB2_3 Depth=1
	v_mov_b64_e32 v[2:3], 0
	v_mov_b64_e32 v[12:13], v[6:7]
	v_lshlrev_b32_e32 v8, 3, v32
	s_mov_b64 s[0:1], 0
	s_mov_b32 s11, 0
.LBB2_6:                                ;   Parent Loop BB2_3 Depth=1
                                        ; =>  This Inner Loop Header: Depth=2
	flat_load_u8 v14, v[12:13]
	v_mov_b32_e32 v15, s10
	s_wait_xcnt 0x0
	v_add_nc_u64_e32 v[12:13], 1, v[12:13]
	s_wait_loadcnt_dscnt 0x0
	v_and_b32_e32 v14, 0xffff, v14
	s_delay_alu instid0(VALU_DEP_1) | instskip(SKIP_1) | instid1(SALU_CYCLE_1)
	v_lshlrev_b64_e32 v[14:15], s0, v[14:15]
	s_add_nc_u64 s[0:1], s[0:1], 8
	v_cmp_eq_u32_e32 vcc_lo, s0, v8
	s_delay_alu instid0(VALU_DEP_2) | instskip(NEXT) | instid1(VALU_DEP_3)
	v_or_b32_e32 v3, v15, v3
	v_or_b32_e32 v2, v14, v2
	s_or_b32 s11, vcc_lo, s11
	s_delay_alu instid0(SALU_CYCLE_1)
	s_and_not1_b32 exec_lo, exec_lo, s11
	s_cbranch_execnz .LBB2_6
; %bb.7:                                ;   in Loop: Header=BB2_3 Depth=1
	s_or_b32 exec_lo, exec_lo, s11
.LBB2_8:                                ;   in Loop: Header=BB2_3 Depth=1
	s_delay_alu instid0(SALU_CYCLE_1)
	s_or_b32 exec_lo, exec_lo, s5
	v_mov_b64_e32 v[14:15], v[6:7]
.LBB2_9:                                ;   in Loop: Header=BB2_3 Depth=1
	s_or_saveexec_b32 s0, s4
	v_mov_b32_e32 v8, 0
	s_xor_b32 exec_lo, exec_lo, s0
	s_cbranch_execz .LBB2_11
; %bb.10:                               ;   in Loop: Header=BB2_3 Depth=1
	flat_load_b64 v[2:3], v[6:7]
	v_add_nc_u32_e32 v8, -8, v32
.LBB2_11:                               ;   in Loop: Header=BB2_3 Depth=1
	s_wait_xcnt 0x0
	s_or_b32 exec_lo, exec_lo, s0
	v_add_nc_u64_e32 v[16:17], 8, v[14:15]
                                        ; implicit-def: $vgpr12_vgpr13
	s_mov_b32 s0, exec_lo
	v_cmpx_gt_u32_e32 8, v8
	s_xor_b32 s11, exec_lo, s0
	s_cbranch_execz .LBB2_17
; %bb.12:                               ;   in Loop: Header=BB2_3 Depth=1
	v_mov_b64_e32 v[12:13], 0
	s_mov_b32 s12, exec_lo
	v_cmpx_ne_u32_e32 0, v8
	s_cbranch_execz .LBB2_16
; %bb.13:                               ;   in Loop: Header=BB2_3 Depth=1
	v_mov_b64_e32 v[12:13], 0
	s_mov_b64 s[0:1], 0
	s_mov_b32 s13, 0
	s_mov_b64 s[4:5], 0
.LBB2_14:                               ;   Parent Loop BB2_3 Depth=1
                                        ; =>  This Inner Loop Header: Depth=2
	s_delay_alu instid0(SALU_CYCLE_1) | instskip(SKIP_1) | instid1(SALU_CYCLE_1)
	v_add_nc_u64_e32 v[16:17], s[4:5], v[14:15]
	s_add_nc_u64 s[4:5], s[4:5], 1
	v_cmp_eq_u32_e32 vcc_lo, s4, v8
	flat_load_u8 v16, v[16:17]
	s_wait_xcnt 0x0
	v_mov_b32_e32 v17, s10
	s_or_b32 s13, vcc_lo, s13
	s_wait_loadcnt_dscnt 0x0
	v_and_b32_e32 v16, 0xffff, v16
	s_delay_alu instid0(VALU_DEP_1) | instskip(SKIP_1) | instid1(VALU_DEP_1)
	v_lshlrev_b64_e32 v[16:17], s0, v[16:17]
	s_add_nc_u64 s[0:1], s[0:1], 8
	v_or_b32_e32 v13, v17, v13
	s_delay_alu instid0(VALU_DEP_2)
	v_or_b32_e32 v12, v16, v12
	s_and_not1_b32 exec_lo, exec_lo, s13
	s_cbranch_execnz .LBB2_14
; %bb.15:                               ;   in Loop: Header=BB2_3 Depth=1
	s_or_b32 exec_lo, exec_lo, s13
.LBB2_16:                               ;   in Loop: Header=BB2_3 Depth=1
	s_delay_alu instid0(SALU_CYCLE_1)
	s_or_b32 exec_lo, exec_lo, s12
	v_mov_b64_e32 v[16:17], v[14:15]
                                        ; implicit-def: $vgpr8
.LBB2_17:                               ;   in Loop: Header=BB2_3 Depth=1
	s_or_saveexec_b32 s0, s11
	v_mov_b32_e32 v20, 0
	s_xor_b32 exec_lo, exec_lo, s0
	s_cbranch_execz .LBB2_19
; %bb.18:                               ;   in Loop: Header=BB2_3 Depth=1
	flat_load_b64 v[12:13], v[14:15]
	v_add_nc_u32_e32 v20, -8, v8
.LBB2_19:                               ;   in Loop: Header=BB2_3 Depth=1
	s_wait_xcnt 0x0
	s_or_b32 exec_lo, exec_lo, s0
	v_add_nc_u64_e32 v[18:19], 8, v[16:17]
	s_mov_b32 s0, exec_lo
	v_cmpx_gt_u32_e32 8, v20
	s_xor_b32 s11, exec_lo, s0
	s_cbranch_execz .LBB2_25
; %bb.20:                               ;   in Loop: Header=BB2_3 Depth=1
	v_mov_b64_e32 v[14:15], 0
	s_mov_b32 s12, exec_lo
	v_cmpx_ne_u32_e32 0, v20
	s_cbranch_execz .LBB2_24
; %bb.21:                               ;   in Loop: Header=BB2_3 Depth=1
	v_mov_b64_e32 v[14:15], 0
	s_mov_b64 s[0:1], 0
	s_mov_b32 s13, 0
	s_mov_b64 s[4:5], 0
.LBB2_22:                               ;   Parent Loop BB2_3 Depth=1
                                        ; =>  This Inner Loop Header: Depth=2
	s_delay_alu instid0(SALU_CYCLE_1) | instskip(SKIP_1) | instid1(SALU_CYCLE_1)
	v_add_nc_u64_e32 v[18:19], s[4:5], v[16:17]
	s_add_nc_u64 s[4:5], s[4:5], 1
	v_cmp_eq_u32_e32 vcc_lo, s4, v20
	flat_load_u8 v8, v[18:19]
	s_wait_xcnt 0x0
	v_mov_b32_e32 v19, s10
	s_or_b32 s13, vcc_lo, s13
	s_wait_loadcnt_dscnt 0x0
	v_and_b32_e32 v18, 0xffff, v8
	s_delay_alu instid0(VALU_DEP_1) | instskip(SKIP_1) | instid1(VALU_DEP_1)
	v_lshlrev_b64_e32 v[18:19], s0, v[18:19]
	s_add_nc_u64 s[0:1], s[0:1], 8
	v_or_b32_e32 v15, v19, v15
	s_delay_alu instid0(VALU_DEP_2)
	v_or_b32_e32 v14, v18, v14
	s_and_not1_b32 exec_lo, exec_lo, s13
	s_cbranch_execnz .LBB2_22
; %bb.23:                               ;   in Loop: Header=BB2_3 Depth=1
	s_or_b32 exec_lo, exec_lo, s13
.LBB2_24:                               ;   in Loop: Header=BB2_3 Depth=1
	s_delay_alu instid0(SALU_CYCLE_1)
	s_or_b32 exec_lo, exec_lo, s12
	v_mov_b64_e32 v[18:19], v[16:17]
                                        ; implicit-def: $vgpr20
.LBB2_25:                               ;   in Loop: Header=BB2_3 Depth=1
	s_or_saveexec_b32 s0, s11
	v_mov_b32_e32 v8, 0
	s_xor_b32 exec_lo, exec_lo, s0
	s_cbranch_execz .LBB2_27
; %bb.26:                               ;   in Loop: Header=BB2_3 Depth=1
	flat_load_b64 v[14:15], v[16:17]
	v_add_nc_u32_e32 v8, -8, v20
.LBB2_27:                               ;   in Loop: Header=BB2_3 Depth=1
	s_wait_xcnt 0x0
	s_or_b32 exec_lo, exec_lo, s0
	v_add_nc_u64_e32 v[20:21], 8, v[18:19]
                                        ; implicit-def: $vgpr16_vgpr17
	s_mov_b32 s0, exec_lo
	v_cmpx_gt_u32_e32 8, v8
	s_xor_b32 s11, exec_lo, s0
	s_cbranch_execz .LBB2_33
; %bb.28:                               ;   in Loop: Header=BB2_3 Depth=1
	v_mov_b64_e32 v[16:17], 0
	s_mov_b32 s12, exec_lo
	v_cmpx_ne_u32_e32 0, v8
	s_cbranch_execz .LBB2_32
; %bb.29:                               ;   in Loop: Header=BB2_3 Depth=1
	v_mov_b64_e32 v[16:17], 0
	s_mov_b64 s[0:1], 0
	s_mov_b32 s13, 0
	s_mov_b64 s[4:5], 0
.LBB2_30:                               ;   Parent Loop BB2_3 Depth=1
                                        ; =>  This Inner Loop Header: Depth=2
	s_delay_alu instid0(SALU_CYCLE_1) | instskip(SKIP_1) | instid1(SALU_CYCLE_1)
	v_add_nc_u64_e32 v[20:21], s[4:5], v[18:19]
	s_add_nc_u64 s[4:5], s[4:5], 1
	v_cmp_eq_u32_e32 vcc_lo, s4, v8
	flat_load_u8 v20, v[20:21]
	s_wait_xcnt 0x0
	v_mov_b32_e32 v21, s10
	s_or_b32 s13, vcc_lo, s13
	s_wait_loadcnt_dscnt 0x0
	v_and_b32_e32 v20, 0xffff, v20
	s_delay_alu instid0(VALU_DEP_1) | instskip(SKIP_1) | instid1(VALU_DEP_1)
	v_lshlrev_b64_e32 v[20:21], s0, v[20:21]
	s_add_nc_u64 s[0:1], s[0:1], 8
	v_or_b32_e32 v17, v21, v17
	s_delay_alu instid0(VALU_DEP_2)
	v_or_b32_e32 v16, v20, v16
	s_and_not1_b32 exec_lo, exec_lo, s13
	s_cbranch_execnz .LBB2_30
; %bb.31:                               ;   in Loop: Header=BB2_3 Depth=1
	s_or_b32 exec_lo, exec_lo, s13
.LBB2_32:                               ;   in Loop: Header=BB2_3 Depth=1
	s_delay_alu instid0(SALU_CYCLE_1)
	s_or_b32 exec_lo, exec_lo, s12
	v_mov_b64_e32 v[20:21], v[18:19]
                                        ; implicit-def: $vgpr8
.LBB2_33:                               ;   in Loop: Header=BB2_3 Depth=1
	s_or_saveexec_b32 s0, s11
	v_mov_b32_e32 v24, 0
	s_xor_b32 exec_lo, exec_lo, s0
	s_cbranch_execz .LBB2_35
; %bb.34:                               ;   in Loop: Header=BB2_3 Depth=1
	flat_load_b64 v[16:17], v[18:19]
	v_add_nc_u32_e32 v24, -8, v8
.LBB2_35:                               ;   in Loop: Header=BB2_3 Depth=1
	s_wait_xcnt 0x0
	s_or_b32 exec_lo, exec_lo, s0
	v_add_nc_u64_e32 v[22:23], 8, v[20:21]
	s_mov_b32 s0, exec_lo
	v_cmpx_gt_u32_e32 8, v24
	s_xor_b32 s11, exec_lo, s0
	s_cbranch_execz .LBB2_41
; %bb.36:                               ;   in Loop: Header=BB2_3 Depth=1
	v_mov_b64_e32 v[18:19], 0
	s_mov_b32 s12, exec_lo
	v_cmpx_ne_u32_e32 0, v24
	s_cbranch_execz .LBB2_40
; %bb.37:                               ;   in Loop: Header=BB2_3 Depth=1
	v_mov_b64_e32 v[18:19], 0
	s_mov_b64 s[0:1], 0
	s_mov_b32 s13, 0
	s_mov_b64 s[4:5], 0
.LBB2_38:                               ;   Parent Loop BB2_3 Depth=1
                                        ; =>  This Inner Loop Header: Depth=2
	s_delay_alu instid0(SALU_CYCLE_1) | instskip(SKIP_1) | instid1(SALU_CYCLE_1)
	v_add_nc_u64_e32 v[22:23], s[4:5], v[20:21]
	s_add_nc_u64 s[4:5], s[4:5], 1
	v_cmp_eq_u32_e32 vcc_lo, s4, v24
	flat_load_u8 v8, v[22:23]
	s_wait_xcnt 0x0
	v_mov_b32_e32 v23, s10
	s_or_b32 s13, vcc_lo, s13
	s_wait_loadcnt_dscnt 0x0
	v_and_b32_e32 v22, 0xffff, v8
	s_delay_alu instid0(VALU_DEP_1) | instskip(SKIP_1) | instid1(VALU_DEP_1)
	v_lshlrev_b64_e32 v[22:23], s0, v[22:23]
	s_add_nc_u64 s[0:1], s[0:1], 8
	v_or_b32_e32 v19, v23, v19
	s_delay_alu instid0(VALU_DEP_2)
	v_or_b32_e32 v18, v22, v18
	s_and_not1_b32 exec_lo, exec_lo, s13
	s_cbranch_execnz .LBB2_38
; %bb.39:                               ;   in Loop: Header=BB2_3 Depth=1
	s_or_b32 exec_lo, exec_lo, s13
.LBB2_40:                               ;   in Loop: Header=BB2_3 Depth=1
	s_delay_alu instid0(SALU_CYCLE_1)
	s_or_b32 exec_lo, exec_lo, s12
	v_mov_b64_e32 v[22:23], v[20:21]
                                        ; implicit-def: $vgpr24
.LBB2_41:                               ;   in Loop: Header=BB2_3 Depth=1
	s_or_saveexec_b32 s0, s11
	v_mov_b32_e32 v8, 0
	s_xor_b32 exec_lo, exec_lo, s0
	s_cbranch_execz .LBB2_43
; %bb.42:                               ;   in Loop: Header=BB2_3 Depth=1
	flat_load_b64 v[18:19], v[20:21]
	v_add_nc_u32_e32 v8, -8, v24
.LBB2_43:                               ;   in Loop: Header=BB2_3 Depth=1
	s_wait_xcnt 0x0
	s_or_b32 exec_lo, exec_lo, s0
	v_add_nc_u64_e32 v[24:25], 8, v[22:23]
                                        ; implicit-def: $vgpr20_vgpr21
	s_mov_b32 s0, exec_lo
	v_cmpx_gt_u32_e32 8, v8
	s_xor_b32 s11, exec_lo, s0
	s_cbranch_execz .LBB2_49
; %bb.44:                               ;   in Loop: Header=BB2_3 Depth=1
	v_mov_b64_e32 v[20:21], 0
	s_mov_b32 s12, exec_lo
	v_cmpx_ne_u32_e32 0, v8
	s_cbranch_execz .LBB2_48
; %bb.45:                               ;   in Loop: Header=BB2_3 Depth=1
	v_mov_b64_e32 v[20:21], 0
	s_mov_b64 s[0:1], 0
	s_mov_b32 s13, 0
	s_mov_b64 s[4:5], 0
.LBB2_46:                               ;   Parent Loop BB2_3 Depth=1
                                        ; =>  This Inner Loop Header: Depth=2
	s_delay_alu instid0(SALU_CYCLE_1) | instskip(SKIP_1) | instid1(SALU_CYCLE_1)
	v_add_nc_u64_e32 v[24:25], s[4:5], v[22:23]
	s_add_nc_u64 s[4:5], s[4:5], 1
	v_cmp_eq_u32_e32 vcc_lo, s4, v8
	flat_load_u8 v24, v[24:25]
	s_wait_xcnt 0x0
	v_mov_b32_e32 v25, s10
	s_or_b32 s13, vcc_lo, s13
	s_wait_loadcnt_dscnt 0x0
	v_and_b32_e32 v24, 0xffff, v24
	s_delay_alu instid0(VALU_DEP_1) | instskip(SKIP_1) | instid1(VALU_DEP_1)
	v_lshlrev_b64_e32 v[24:25], s0, v[24:25]
	s_add_nc_u64 s[0:1], s[0:1], 8
	v_or_b32_e32 v21, v25, v21
	s_delay_alu instid0(VALU_DEP_2)
	v_or_b32_e32 v20, v24, v20
	s_and_not1_b32 exec_lo, exec_lo, s13
	s_cbranch_execnz .LBB2_46
; %bb.47:                               ;   in Loop: Header=BB2_3 Depth=1
	s_or_b32 exec_lo, exec_lo, s13
.LBB2_48:                               ;   in Loop: Header=BB2_3 Depth=1
	s_delay_alu instid0(SALU_CYCLE_1)
	s_or_b32 exec_lo, exec_lo, s12
	v_mov_b64_e32 v[24:25], v[22:23]
                                        ; implicit-def: $vgpr8
.LBB2_49:                               ;   in Loop: Header=BB2_3 Depth=1
	s_or_saveexec_b32 s0, s11
	v_mov_b32_e32 v26, 0
	s_xor_b32 exec_lo, exec_lo, s0
	s_cbranch_execz .LBB2_51
; %bb.50:                               ;   in Loop: Header=BB2_3 Depth=1
	flat_load_b64 v[20:21], v[22:23]
	v_add_nc_u32_e32 v26, -8, v8
.LBB2_51:                               ;   in Loop: Header=BB2_3 Depth=1
	s_wait_xcnt 0x0
	s_or_b32 exec_lo, exec_lo, s0
	s_delay_alu instid0(SALU_CYCLE_1) | instskip(NEXT) | instid1(VALU_DEP_1)
	s_mov_b32 s0, exec_lo
	v_cmpx_gt_u32_e32 8, v26
	s_xor_b32 s4, exec_lo, s0
	s_cbranch_execz .LBB2_57
; %bb.52:                               ;   in Loop: Header=BB2_3 Depth=1
	v_mov_b64_e32 v[22:23], 0
	s_mov_b32 s5, exec_lo
	v_cmpx_ne_u32_e32 0, v26
	s_cbranch_execz .LBB2_56
; %bb.53:                               ;   in Loop: Header=BB2_3 Depth=1
	v_mov_b64_e32 v[22:23], 0
	s_mov_b64 s[0:1], 0
	s_mov_b32 s11, 0
.LBB2_54:                               ;   Parent Loop BB2_3 Depth=1
                                        ; =>  This Inner Loop Header: Depth=2
	flat_load_u8 v8, v[24:25]
	v_dual_mov_b32 v35, s10 :: v_dual_add_nc_u32 v26, -1, v26
	s_wait_xcnt 0x0
	v_add_nc_u64_e32 v[24:25], 1, v[24:25]
	s_delay_alu instid0(VALU_DEP_2) | instskip(SKIP_3) | instid1(VALU_DEP_1)
	v_cmp_eq_u32_e32 vcc_lo, 0, v26
	s_or_b32 s11, vcc_lo, s11
	s_wait_loadcnt_dscnt 0x0
	v_and_b32_e32 v34, 0xffff, v8
	v_lshlrev_b64_e32 v[34:35], s0, v[34:35]
	s_add_nc_u64 s[0:1], s[0:1], 8
	s_delay_alu instid0(VALU_DEP_1) | instskip(NEXT) | instid1(VALU_DEP_2)
	v_or_b32_e32 v23, v35, v23
	v_or_b32_e32 v22, v34, v22
	s_and_not1_b32 exec_lo, exec_lo, s11
	s_cbranch_execnz .LBB2_54
; %bb.55:                               ;   in Loop: Header=BB2_3 Depth=1
	s_or_b32 exec_lo, exec_lo, s11
.LBB2_56:                               ;   in Loop: Header=BB2_3 Depth=1
	s_delay_alu instid0(SALU_CYCLE_1)
	s_or_b32 exec_lo, exec_lo, s5
                                        ; implicit-def: $vgpr24_vgpr25
.LBB2_57:                               ;   in Loop: Header=BB2_3 Depth=1
	s_and_not1_saveexec_b32 s0, s4
	s_cbranch_execz .LBB2_59
; %bb.58:                               ;   in Loop: Header=BB2_3 Depth=1
	flat_load_b64 v[22:23], v[24:25]
.LBB2_59:                               ;   in Loop: Header=BB2_3 Depth=1
	s_wait_xcnt 0x0
	s_or_b32 exec_lo, exec_lo, s0
	v_readfirstlane_b32 s0, v28
	v_mov_b64_e32 v[34:35], 0
	s_delay_alu instid0(VALU_DEP_2)
	v_cmp_eq_u32_e64 s0, s0, v28
	s_and_saveexec_b32 s1, s0
	s_cbranch_execz .LBB2_65
; %bb.60:                               ;   in Loop: Header=BB2_3 Depth=1
	s_wait_kmcnt 0x0
	global_load_b64 v[26:27], v9, s[2:3] offset:24 scope:SCOPE_SYS
	s_wait_loadcnt 0x0
	global_inv scope:SCOPE_SYS
	s_clause 0x1
	global_load_b64 v[24:25], v9, s[2:3] offset:40
	global_load_b64 v[34:35], v9, s[2:3]
	s_mov_b32 s4, exec_lo
	s_wait_loadcnt 0x1
	v_and_b32_e32 v24, v24, v26
	v_and_b32_e32 v25, v25, v27
	s_delay_alu instid0(VALU_DEP_1) | instskip(SKIP_1) | instid1(VALU_DEP_1)
	v_mul_u64_e32 v[24:25], 24, v[24:25]
	s_wait_loadcnt 0x0
	v_add_nc_u64_e32 v[24:25], v[34:35], v[24:25]
	global_load_b64 v[24:25], v[24:25], off scope:SCOPE_SYS
	s_wait_xcnt 0x0
	s_wait_loadcnt 0x0
	global_atomic_cmpswap_b64 v[34:35], v9, v[24:27], s[2:3] offset:24 th:TH_ATOMIC_RETURN scope:SCOPE_SYS
	s_wait_loadcnt 0x0
	global_inv scope:SCOPE_SYS
	s_wait_xcnt 0x0
	v_cmpx_ne_u64_e64 v[34:35], v[26:27]
	s_cbranch_execz .LBB2_64
; %bb.61:                               ;   in Loop: Header=BB2_3 Depth=1
	s_mov_b32 s5, 0
.LBB2_62:                               ;   Parent Loop BB2_3 Depth=1
                                        ; =>  This Inner Loop Header: Depth=2
	s_sleep 1
	s_clause 0x1
	global_load_b64 v[24:25], v9, s[2:3] offset:40
	global_load_b64 v[36:37], v9, s[2:3]
	v_mov_b64_e32 v[26:27], v[34:35]
	s_wait_loadcnt 0x1
	s_delay_alu instid0(VALU_DEP_1) | instskip(SKIP_1) | instid1(VALU_DEP_1)
	v_and_b32_e32 v8, v24, v26
	s_wait_loadcnt 0x0
	v_mad_nc_u64_u32 v[34:35], v8, 24, v[36:37]
	s_delay_alu instid0(VALU_DEP_3) | instskip(NEXT) | instid1(VALU_DEP_1)
	v_and_b32_e32 v8, v25, v27
	v_mad_u32 v35, v8, 24, v35
	global_load_b64 v[24:25], v[34:35], off scope:SCOPE_SYS
	s_wait_xcnt 0x0
	s_wait_loadcnt 0x0
	global_atomic_cmpswap_b64 v[34:35], v9, v[24:27], s[2:3] offset:24 th:TH_ATOMIC_RETURN scope:SCOPE_SYS
	s_wait_loadcnt 0x0
	global_inv scope:SCOPE_SYS
	v_cmp_eq_u64_e32 vcc_lo, v[34:35], v[26:27]
	s_or_b32 s5, vcc_lo, s5
	s_wait_xcnt 0x0
	s_and_not1_b32 exec_lo, exec_lo, s5
	s_cbranch_execnz .LBB2_62
; %bb.63:                               ;   in Loop: Header=BB2_3 Depth=1
	s_or_b32 exec_lo, exec_lo, s5
.LBB2_64:                               ;   in Loop: Header=BB2_3 Depth=1
	s_delay_alu instid0(SALU_CYCLE_1)
	s_or_b32 exec_lo, exec_lo, s4
.LBB2_65:                               ;   in Loop: Header=BB2_3 Depth=1
	s_delay_alu instid0(SALU_CYCLE_1)
	s_or_b32 exec_lo, exec_lo, s1
	s_wait_kmcnt 0x0
	s_clause 0x1
	global_load_b64 v[36:37], v9, s[2:3] offset:40
	global_load_b128 v[24:27], v9, s[2:3]
	v_readfirstlane_b32 s4, v34
	v_readfirstlane_b32 s5, v35
	s_mov_b32 s1, exec_lo
	s_wait_loadcnt 0x1
	v_and_b32_e32 v36, s4, v36
	v_and_b32_e32 v37, s5, v37
	s_delay_alu instid0(VALU_DEP_1) | instskip(SKIP_1) | instid1(VALU_DEP_1)
	v_mul_u64_e32 v[34:35], 24, v[36:37]
	s_wait_loadcnt 0x0
	v_add_nc_u64_e32 v[34:35], v[24:25], v[34:35]
	s_wait_xcnt 0x0
	s_and_saveexec_b32 s11, s0
	s_cbranch_execz .LBB2_67
; %bb.66:                               ;   in Loop: Header=BB2_3 Depth=1
	v_mov_b32_e32 v8, s1
	global_store_b128 v[34:35], v[8:11], off offset:8
.LBB2_67:                               ;   in Loop: Header=BB2_3 Depth=1
	s_wait_xcnt 0x0
	s_or_b32 exec_lo, exec_lo, s11
	v_cmp_gt_u64_e32 vcc_lo, 57, v[4:5]
	v_lshlrev_b64_e32 v[36:37], 12, v[36:37]
	v_and_b32_e32 v0, 0xffffff1f, v0
	v_lshl_add_u32 v29, v32, 2, 28
	v_cndmask_b32_e32 v8, 0, v30, vcc_lo
	s_delay_alu instid0(VALU_DEP_4) | instskip(NEXT) | instid1(VALU_DEP_2)
	v_add_nc_u64_e32 v[26:27], v[26:27], v[36:37]
	v_or_b32_e32 v0, v0, v8
	v_lshlrev_b32_e32 v8, 6, v28
	s_delay_alu instid0(VALU_DEP_3) | instskip(NEXT) | instid1(VALU_DEP_4)
	v_readfirstlane_b32 s12, v26
	v_readfirstlane_b32 s13, v27
	s_delay_alu instid0(VALU_DEP_4)
	v_and_or_b32 v0, 0x1e0, v29, v0
	s_wait_dscnt 0x0
	s_clause 0x3
	global_store_b128 v8, v[0:3], s[12:13]
	global_store_b128 v8, v[12:15], s[12:13] offset:16
	global_store_b128 v8, v[16:19], s[12:13] offset:32
	;; [unrolled: 1-line block ×3, first 2 shown]
	s_wait_xcnt 0x0
	s_and_saveexec_b32 s1, s0
	s_cbranch_execz .LBB2_75
; %bb.68:                               ;   in Loop: Header=BB2_3 Depth=1
	s_clause 0x1
	global_load_b64 v[16:17], v9, s[2:3] offset:32 scope:SCOPE_SYS
	global_load_b64 v[0:1], v9, s[2:3] offset:40
	s_mov_b32 s11, exec_lo
	v_dual_mov_b32 v14, s4 :: v_dual_mov_b32 v15, s5
	s_wait_loadcnt 0x0
	v_and_b32_e32 v1, s5, v1
	v_and_b32_e32 v0, s4, v0
	s_delay_alu instid0(VALU_DEP_1) | instskip(NEXT) | instid1(VALU_DEP_1)
	v_mul_u64_e32 v[0:1], 24, v[0:1]
	v_add_nc_u64_e32 v[12:13], v[24:25], v[0:1]
	global_store_b64 v[12:13], v[16:17], off
	global_wb scope:SCOPE_SYS
	s_wait_storecnt 0x0
	s_wait_xcnt 0x0
	global_atomic_cmpswap_b64 v[2:3], v9, v[14:17], s[2:3] offset:32 th:TH_ATOMIC_RETURN scope:SCOPE_SYS
	s_wait_loadcnt 0x0
	v_cmpx_ne_u64_e64 v[2:3], v[16:17]
	s_cbranch_execz .LBB2_71
; %bb.69:                               ;   in Loop: Header=BB2_3 Depth=1
	s_mov_b32 s12, 0
.LBB2_70:                               ;   Parent Loop BB2_3 Depth=1
                                        ; =>  This Inner Loop Header: Depth=2
	v_dual_mov_b32 v0, s4 :: v_dual_mov_b32 v1, s5
	s_sleep 1
	global_store_b64 v[12:13], v[2:3], off
	global_wb scope:SCOPE_SYS
	s_wait_storecnt 0x0
	s_wait_xcnt 0x0
	global_atomic_cmpswap_b64 v[0:1], v9, v[0:3], s[2:3] offset:32 th:TH_ATOMIC_RETURN scope:SCOPE_SYS
	s_wait_loadcnt 0x0
	v_cmp_eq_u64_e32 vcc_lo, v[0:1], v[2:3]
	v_mov_b64_e32 v[2:3], v[0:1]
	s_or_b32 s12, vcc_lo, s12
	s_delay_alu instid0(SALU_CYCLE_1)
	s_and_not1_b32 exec_lo, exec_lo, s12
	s_cbranch_execnz .LBB2_70
.LBB2_71:                               ;   in Loop: Header=BB2_3 Depth=1
	s_or_b32 exec_lo, exec_lo, s11
	global_load_b64 v[0:1], v9, s[2:3] offset:16
	s_mov_b32 s12, exec_lo
	s_mov_b32 s11, exec_lo
	v_mbcnt_lo_u32_b32 v2, s12, 0
	s_wait_xcnt 0x0
	s_delay_alu instid0(VALU_DEP_1)
	v_cmpx_eq_u32_e32 0, v2
	s_cbranch_execz .LBB2_73
; %bb.72:                               ;   in Loop: Header=BB2_3 Depth=1
	s_bcnt1_i32_b32 s12, s12
	s_delay_alu instid0(SALU_CYCLE_1)
	v_dual_mov_b32 v3, v9 :: v_dual_mov_b32 v2, s12
	global_wb scope:SCOPE_SYS
	s_wait_loadcnt 0x0
	s_wait_storecnt 0x0
	global_atomic_add_u64 v[0:1], v[2:3], off offset:8 scope:SCOPE_SYS
.LBB2_73:                               ;   in Loop: Header=BB2_3 Depth=1
	s_wait_xcnt 0x0
	s_or_b32 exec_lo, exec_lo, s11
	s_wait_loadcnt 0x0
	global_load_b64 v[2:3], v[0:1], off offset:16
	s_wait_loadcnt 0x0
	v_cmp_eq_u64_e32 vcc_lo, 0, v[2:3]
	s_cbranch_vccnz .LBB2_75
; %bb.74:                               ;   in Loop: Header=BB2_3 Depth=1
	global_load_b32 v0, v[0:1], off offset:24
	s_wait_xcnt 0x0
	v_mov_b32_e32 v1, v9
	s_wait_loadcnt 0x0
	v_readfirstlane_b32 s11, v0
	global_wb scope:SCOPE_SYS
	s_wait_storecnt 0x0
	global_store_b64 v[2:3], v[0:1], off scope:SCOPE_SYS
	s_and_b32 m0, s11, 0xffffff
	s_sendmsg sendmsg(MSG_INTERRUPT)
.LBB2_75:                               ;   in Loop: Header=BB2_3 Depth=1
	s_wait_xcnt 0x0
	s_or_b32 exec_lo, exec_lo, s1
	v_add_nc_u64_e32 v[0:1], v[26:27], v[8:9]
	s_branch .LBB2_79
.LBB2_76:                               ;   in Loop: Header=BB2_79 Depth=2
	s_wait_xcnt 0x0
	s_or_b32 exec_lo, exec_lo, s1
	s_delay_alu instid0(VALU_DEP_1)
	v_readfirstlane_b32 s1, v2
	s_cmp_eq_u32 s1, 0
	s_cbranch_scc1 .LBB2_78
; %bb.77:                               ;   in Loop: Header=BB2_79 Depth=2
	s_sleep 1
	s_cbranch_execnz .LBB2_79
	s_branch .LBB2_81
.LBB2_78:                               ;   in Loop: Header=BB2_3 Depth=1
	s_branch .LBB2_81
.LBB2_79:                               ;   Parent Loop BB2_3 Depth=1
                                        ; =>  This Inner Loop Header: Depth=2
	v_mov_b32_e32 v2, 1
	s_and_saveexec_b32 s1, s0
	s_cbranch_execz .LBB2_76
; %bb.80:                               ;   in Loop: Header=BB2_79 Depth=2
	global_load_b32 v2, v[34:35], off offset:20 scope:SCOPE_SYS
	s_wait_loadcnt 0x0
	global_inv scope:SCOPE_SYS
	v_and_b32_e32 v2, 1, v2
	s_branch .LBB2_76
.LBB2_81:                               ;   in Loop: Header=BB2_3 Depth=1
	global_load_b64 v[0:1], v[0:1], off
	s_wait_xcnt 0x0
	s_and_saveexec_b32 s11, s0
	s_cbranch_execz .LBB2_2
; %bb.82:                               ;   in Loop: Header=BB2_3 Depth=1
	s_clause 0x2
	global_load_b64 v[2:3], v9, s[2:3] offset:40
	global_load_b64 v[16:17], v9, s[2:3] offset:24 scope:SCOPE_SYS
	global_load_b64 v[12:13], v9, s[2:3]
	s_wait_loadcnt 0x2
	v_readfirstlane_b32 s12, v2
	v_readfirstlane_b32 s13, v3
	s_add_nc_u64 s[0:1], s[12:13], 1
	s_delay_alu instid0(SALU_CYCLE_1) | instskip(NEXT) | instid1(SALU_CYCLE_1)
	s_add_nc_u64 s[4:5], s[0:1], s[4:5]
	s_cmp_eq_u64 s[4:5], 0
	s_cselect_b32 s1, s1, s5
	s_cselect_b32 s0, s0, s4
	s_delay_alu instid0(SALU_CYCLE_1) | instskip(SKIP_1) | instid1(SALU_CYCLE_1)
	v_dual_mov_b32 v15, s1 :: v_dual_mov_b32 v14, s0
	s_and_b64 s[4:5], s[0:1], s[12:13]
	s_mul_u64 s[4:5], s[4:5], 24
	s_wait_loadcnt 0x0
	v_add_nc_u64_e32 v[2:3], s[4:5], v[12:13]
	global_store_b64 v[2:3], v[16:17], off
	global_wb scope:SCOPE_SYS
	s_wait_storecnt 0x0
	s_wait_xcnt 0x0
	global_atomic_cmpswap_b64 v[14:15], v9, v[14:17], s[2:3] offset:24 th:TH_ATOMIC_RETURN scope:SCOPE_SYS
	s_wait_loadcnt 0x0
	v_cmp_ne_u64_e32 vcc_lo, v[14:15], v[16:17]
	s_and_b32 exec_lo, exec_lo, vcc_lo
	s_cbranch_execz .LBB2_2
; %bb.83:                               ;   in Loop: Header=BB2_3 Depth=1
	s_mov_b32 s4, 0
.LBB2_84:                               ;   Parent Loop BB2_3 Depth=1
                                        ; =>  This Inner Loop Header: Depth=2
	v_dual_mov_b32 v12, s0 :: v_dual_mov_b32 v13, s1
	s_sleep 1
	global_store_b64 v[2:3], v[14:15], off
	global_wb scope:SCOPE_SYS
	s_wait_storecnt 0x0
	s_wait_xcnt 0x0
	global_atomic_cmpswap_b64 v[12:13], v9, v[12:15], s[2:3] offset:24 th:TH_ATOMIC_RETURN scope:SCOPE_SYS
	s_wait_loadcnt 0x0
	v_cmp_eq_u64_e32 vcc_lo, v[12:13], v[14:15]
	v_mov_b64_e32 v[14:15], v[12:13]
	s_or_b32 s4, vcc_lo, s4
	s_delay_alu instid0(SALU_CYCLE_1)
	s_and_not1_b32 exec_lo, exec_lo, s4
	s_cbranch_execnz .LBB2_84
	s_branch .LBB2_2
.LBB2_85:
	s_or_b32 exec_lo, exec_lo, s7
                                        ; implicit-def: $vgpr2
                                        ; implicit-def: $vgpr28
.LBB2_86:
	s_and_not1_saveexec_b32 s6, s6
	s_cbranch_execz .LBB2_108
; %bb.87:
	s_load_b64 s[2:3], s[8:9], 0x50
	v_readfirstlane_b32 s0, v28
	v_mov_b64_e32 v[6:7], 0
	s_delay_alu instid0(VALU_DEP_2)
	v_cmp_eq_u32_e64 s0, s0, v28
	s_and_saveexec_b32 s1, s0
	s_cbranch_execz .LBB2_93
; %bb.88:
	s_wait_loadcnt 0x0
	v_mov_b32_e32 v0, 0
	s_mov_b32 s4, exec_lo
	s_wait_kmcnt 0x0
	global_load_b64 v[8:9], v0, s[2:3] offset:24 scope:SCOPE_SYS
	s_wait_loadcnt 0x0
	global_inv scope:SCOPE_SYS
	s_clause 0x1
	global_load_b64 v[4:5], v0, s[2:3] offset:40
	global_load_b64 v[6:7], v0, s[2:3]
	s_wait_loadcnt 0x1
	v_and_b32_e32 v4, v4, v8
	v_and_b32_e32 v5, v5, v9
	s_delay_alu instid0(VALU_DEP_1) | instskip(SKIP_1) | instid1(VALU_DEP_1)
	v_mul_u64_e32 v[4:5], 24, v[4:5]
	s_wait_loadcnt 0x0
	v_add_nc_u64_e32 v[4:5], v[6:7], v[4:5]
	global_load_b64 v[6:7], v[4:5], off scope:SCOPE_SYS
	s_wait_xcnt 0x0
	s_wait_loadcnt 0x0
	global_atomic_cmpswap_b64 v[6:7], v0, v[6:9], s[2:3] offset:24 th:TH_ATOMIC_RETURN scope:SCOPE_SYS
	s_wait_loadcnt 0x0
	global_inv scope:SCOPE_SYS
	s_wait_xcnt 0x0
	v_cmpx_ne_u64_e64 v[6:7], v[8:9]
	s_cbranch_execz .LBB2_92
; %bb.89:
	s_mov_b32 s5, 0
.LBB2_90:                               ; =>This Inner Loop Header: Depth=1
	s_sleep 1
	s_clause 0x1
	global_load_b64 v[4:5], v0, s[2:3] offset:40
	global_load_b64 v[10:11], v0, s[2:3]
	v_mov_b64_e32 v[8:9], v[6:7]
	s_wait_loadcnt 0x1
	s_delay_alu instid0(VALU_DEP_1) | instskip(SKIP_1) | instid1(VALU_DEP_1)
	v_and_b32_e32 v3, v4, v8
	s_wait_loadcnt 0x0
	v_mad_nc_u64_u32 v[6:7], v3, 24, v[10:11]
	s_delay_alu instid0(VALU_DEP_3) | instskip(NEXT) | instid1(VALU_DEP_1)
	v_and_b32_e32 v3, v5, v9
	v_mad_u32 v7, v3, 24, v7
	global_load_b64 v[6:7], v[6:7], off scope:SCOPE_SYS
	s_wait_xcnt 0x0
	s_wait_loadcnt 0x0
	global_atomic_cmpswap_b64 v[6:7], v0, v[6:9], s[2:3] offset:24 th:TH_ATOMIC_RETURN scope:SCOPE_SYS
	s_wait_loadcnt 0x0
	global_inv scope:SCOPE_SYS
	v_cmp_eq_u64_e32 vcc_lo, v[6:7], v[8:9]
	s_or_b32 s5, vcc_lo, s5
	s_wait_xcnt 0x0
	s_and_not1_b32 exec_lo, exec_lo, s5
	s_cbranch_execnz .LBB2_90
; %bb.91:
	s_or_b32 exec_lo, exec_lo, s5
.LBB2_92:
	s_delay_alu instid0(SALU_CYCLE_1)
	s_or_b32 exec_lo, exec_lo, s4
.LBB2_93:
	s_delay_alu instid0(SALU_CYCLE_1)
	s_or_b32 exec_lo, exec_lo, s1
	v_readfirstlane_b32 s4, v6
	v_mov_b32_e32 v5, 0
	v_readfirstlane_b32 s5, v7
	s_mov_b32 s1, exec_lo
	s_wait_kmcnt 0x0
	s_clause 0x1
	global_load_b64 v[12:13], v5, s[2:3] offset:40
	global_load_b128 v[8:11], v5, s[2:3]
	s_wait_loadcnt 0x1
	v_and_b32_e32 v14, s4, v12
	v_and_b32_e32 v15, s5, v13
	s_delay_alu instid0(VALU_DEP_1) | instskip(SKIP_1) | instid1(VALU_DEP_1)
	v_mul_u64_e32 v[6:7], 24, v[14:15]
	s_wait_loadcnt 0x0
	v_add_nc_u64_e32 v[12:13], v[8:9], v[6:7]
	s_wait_xcnt 0x0
	s_and_saveexec_b32 s7, s0
	s_cbranch_execz .LBB2_95
; %bb.94:
	v_mov_b64_e32 v[6:7], 0x100000002
	v_mov_b32_e32 v4, s1
	global_store_b128 v[12:13], v[4:7], off offset:8
.LBB2_95:
	s_wait_xcnt 0x0
	s_or_b32 exec_lo, exec_lo, s7
	v_lshlrev_b64_e32 v[6:7], 12, v[14:15]
	s_mov_b32 s8, 0
	v_and_or_b32 v0, 0xffffff1f, v2, 32
	s_mov_b32 s10, s8
	s_mov_b32 s11, s8
	;; [unrolled: 1-line block ×3, first 2 shown]
	v_mov_b64_e32 v[16:17], s[10:11]
	v_add_nc_u64_e32 v[6:7], v[10:11], v[6:7]
	v_mov_b64_e32 v[14:15], s[8:9]
	v_dual_lshlrev_b32 v4, 6, v28 :: v_dual_mov_b32 v2, v5
	v_mov_b32_e32 v3, v5
	s_delay_alu instid0(VALU_DEP_4)
	v_readfirstlane_b32 s12, v6
	v_readfirstlane_b32 s13, v7
	s_clause 0x3
	global_store_b128 v4, v[0:3], s[12:13]
	global_store_b128 v4, v[14:17], s[12:13] offset:16
	global_store_b128 v4, v[14:17], s[12:13] offset:32
	;; [unrolled: 1-line block ×3, first 2 shown]
	s_wait_xcnt 0x0
	s_and_saveexec_b32 s1, s0
	s_cbranch_execz .LBB2_102
; %bb.96:
	v_dual_mov_b32 v10, 0 :: v_dual_mov_b32 v15, s5
	s_mov_b32 s7, exec_lo
	s_clause 0x1
	global_load_b64 v[16:17], v10, s[2:3] offset:32 scope:SCOPE_SYS
	global_load_b64 v[0:1], v10, s[2:3] offset:40
	s_wait_loadcnt 0x0
	v_dual_mov_b32 v14, s4 :: v_dual_bitop2_b32 v1, s5, v1 bitop3:0x40
	v_and_b32_e32 v0, s4, v0
	s_delay_alu instid0(VALU_DEP_1) | instskip(NEXT) | instid1(VALU_DEP_1)
	v_mul_u64_e32 v[0:1], 24, v[0:1]
	v_add_nc_u64_e32 v[8:9], v[8:9], v[0:1]
	global_store_b64 v[8:9], v[16:17], off
	global_wb scope:SCOPE_SYS
	s_wait_storecnt 0x0
	s_wait_xcnt 0x0
	global_atomic_cmpswap_b64 v[2:3], v10, v[14:17], s[2:3] offset:32 th:TH_ATOMIC_RETURN scope:SCOPE_SYS
	s_wait_loadcnt 0x0
	v_cmpx_ne_u64_e64 v[2:3], v[16:17]
	s_cbranch_execz .LBB2_98
.LBB2_97:                               ; =>This Inner Loop Header: Depth=1
	v_dual_mov_b32 v0, s4 :: v_dual_mov_b32 v1, s5
	s_sleep 1
	global_store_b64 v[8:9], v[2:3], off
	global_wb scope:SCOPE_SYS
	s_wait_storecnt 0x0
	s_wait_xcnt 0x0
	global_atomic_cmpswap_b64 v[0:1], v10, v[0:3], s[2:3] offset:32 th:TH_ATOMIC_RETURN scope:SCOPE_SYS
	s_wait_loadcnt 0x0
	v_cmp_eq_u64_e32 vcc_lo, v[0:1], v[2:3]
	v_mov_b64_e32 v[2:3], v[0:1]
	s_or_b32 s8, vcc_lo, s8
	s_delay_alu instid0(SALU_CYCLE_1)
	s_and_not1_b32 exec_lo, exec_lo, s8
	s_cbranch_execnz .LBB2_97
.LBB2_98:
	s_or_b32 exec_lo, exec_lo, s7
	v_mov_b32_e32 v3, 0
	s_mov_b32 s8, exec_lo
	s_mov_b32 s7, exec_lo
	v_mbcnt_lo_u32_b32 v2, s8, 0
	global_load_b64 v[0:1], v3, s[2:3] offset:16
	s_wait_xcnt 0x0
	v_cmpx_eq_u32_e32 0, v2
	s_cbranch_execz .LBB2_100
; %bb.99:
	s_bcnt1_i32_b32 s8, s8
	s_delay_alu instid0(SALU_CYCLE_1)
	v_mov_b32_e32 v2, s8
	global_wb scope:SCOPE_SYS
	s_wait_loadcnt 0x0
	s_wait_storecnt 0x0
	global_atomic_add_u64 v[0:1], v[2:3], off offset:8 scope:SCOPE_SYS
.LBB2_100:
	s_wait_xcnt 0x0
	s_or_b32 exec_lo, exec_lo, s7
	s_wait_loadcnt 0x0
	global_load_b64 v[2:3], v[0:1], off offset:16
	s_wait_loadcnt 0x0
	v_cmp_eq_u64_e32 vcc_lo, 0, v[2:3]
	s_cbranch_vccnz .LBB2_102
; %bb.101:
	global_load_b32 v0, v[0:1], off offset:24
	s_wait_xcnt 0x0
	v_mov_b32_e32 v1, 0
	s_wait_loadcnt 0x0
	v_readfirstlane_b32 s7, v0
	global_wb scope:SCOPE_SYS
	s_wait_storecnt 0x0
	global_store_b64 v[2:3], v[0:1], off scope:SCOPE_SYS
	s_and_b32 m0, s7, 0xffffff
	s_sendmsg sendmsg(MSG_INTERRUPT)
.LBB2_102:
	s_wait_xcnt 0x0
	s_or_b32 exec_lo, exec_lo, s1
	v_add_nc_u64_e32 v[0:1], v[6:7], v[4:5]
	s_branch .LBB2_106
.LBB2_103:                              ;   in Loop: Header=BB2_106 Depth=1
	s_wait_xcnt 0x0
	s_or_b32 exec_lo, exec_lo, s1
	s_delay_alu instid0(VALU_DEP_1)
	v_readfirstlane_b32 s1, v2
	s_cmp_eq_u32 s1, 0
	s_cbranch_scc1 .LBB2_105
; %bb.104:                              ;   in Loop: Header=BB2_106 Depth=1
	s_sleep 1
	s_cbranch_execnz .LBB2_106
	s_branch .LBB2_109
.LBB2_105:
	s_branch .LBB2_109
.LBB2_106:                              ; =>This Inner Loop Header: Depth=1
	v_mov_b32_e32 v2, 1
	s_and_saveexec_b32 s1, s0
	s_cbranch_execz .LBB2_103
; %bb.107:                              ;   in Loop: Header=BB2_106 Depth=1
	global_load_b32 v2, v[12:13], off offset:20 scope:SCOPE_SYS
	s_wait_loadcnt 0x0
	global_inv scope:SCOPE_SYS
	v_and_b32_e32 v2, 1, v2
	s_branch .LBB2_103
.LBB2_108:
	s_or_b32 exec_lo, exec_lo, s6
	s_wait_loadcnt 0x0
	s_wait_kmcnt 0x0
	s_set_pc_i64 s[30:31]
.LBB2_109:
	global_load_b64 v[0:1], v[0:1], off
	s_wait_xcnt 0x0
	s_and_saveexec_b32 s7, s0
	s_cbranch_execz .LBB2_113
; %bb.110:
	v_mov_b32_e32 v8, 0
	s_clause 0x2
	global_load_b64 v[2:3], v8, s[2:3] offset:40
	global_load_b64 v[12:13], v8, s[2:3] offset:24 scope:SCOPE_SYS
	global_load_b64 v[4:5], v8, s[2:3]
	s_wait_loadcnt 0x2
	v_readfirstlane_b32 s8, v2
	v_readfirstlane_b32 s9, v3
	s_add_nc_u64 s[0:1], s[8:9], 1
	s_delay_alu instid0(SALU_CYCLE_1) | instskip(NEXT) | instid1(SALU_CYCLE_1)
	s_add_nc_u64 s[4:5], s[0:1], s[4:5]
	s_cmp_eq_u64 s[4:5], 0
	s_cselect_b32 s1, s1, s5
	s_cselect_b32 s0, s0, s4
	v_mov_b32_e32 v11, s1
	s_and_b64 s[4:5], s[0:1], s[8:9]
	v_mov_b32_e32 v10, s0
	s_mul_u64 s[4:5], s[4:5], 24
	s_wait_loadcnt 0x0
	v_add_nc_u64_e32 v[6:7], s[4:5], v[4:5]
	global_store_b64 v[6:7], v[12:13], off
	global_wb scope:SCOPE_SYS
	s_wait_storecnt 0x0
	s_wait_xcnt 0x0
	global_atomic_cmpswap_b64 v[4:5], v8, v[10:13], s[2:3] offset:24 th:TH_ATOMIC_RETURN scope:SCOPE_SYS
	s_wait_loadcnt 0x0
	v_cmp_ne_u64_e32 vcc_lo, v[4:5], v[12:13]
	s_and_b32 exec_lo, exec_lo, vcc_lo
	s_cbranch_execz .LBB2_113
; %bb.111:
	s_mov_b32 s4, 0
.LBB2_112:                              ; =>This Inner Loop Header: Depth=1
	v_dual_mov_b32 v2, s0 :: v_dual_mov_b32 v3, s1
	s_sleep 1
	global_store_b64 v[6:7], v[4:5], off
	global_wb scope:SCOPE_SYS
	s_wait_storecnt 0x0
	s_wait_xcnt 0x0
	global_atomic_cmpswap_b64 v[2:3], v8, v[2:5], s[2:3] offset:24 th:TH_ATOMIC_RETURN scope:SCOPE_SYS
	s_wait_loadcnt 0x0
	v_cmp_eq_u64_e32 vcc_lo, v[2:3], v[4:5]
	v_mov_b64_e32 v[4:5], v[2:3]
	s_or_b32 s4, vcc_lo, s4
	s_delay_alu instid0(SALU_CYCLE_1)
	s_and_not1_b32 exec_lo, exec_lo, s4
	s_cbranch_execnz .LBB2_112
.LBB2_113:
	s_or_b32 exec_lo, exec_lo, s7
	s_delay_alu instid0(SALU_CYCLE_1)
	s_or_b32 exec_lo, exec_lo, s6
	s_wait_loadcnt 0x0
	s_wait_kmcnt 0x0
	s_set_pc_i64 s[30:31]
.Lfunc_end2:
	.size	__ockl_printf_append_string_n, .Lfunc_end2-__ockl_printf_append_string_n
                                        ; -- End function
	.set .L__ockl_printf_append_string_n.num_vgpr, 38
	.set .L__ockl_printf_append_string_n.num_agpr, 0
	.set .L__ockl_printf_append_string_n.numbered_sgpr, 32
	.set .L__ockl_printf_append_string_n.num_named_barrier, 0
	.set .L__ockl_printf_append_string_n.private_seg_size, 0
	.set .L__ockl_printf_append_string_n.uses_vcc, 1
	.set .L__ockl_printf_append_string_n.uses_flat_scratch, 0
	.set .L__ockl_printf_append_string_n.has_dyn_sized_stack, 0
	.set .L__ockl_printf_append_string_n.has_recursion, 0
	.set .L__ockl_printf_append_string_n.has_indirect_call, 0
	.section	.AMDGPU.csdata,"",@progbits
; Function info:
; codeLenInByte = 4328
; TotalNumSgprs: 34
; NumVgprs: 38
; ScratchSize: 0
; MemoryBound: 0
	.text
	.p2align	2                               ; -- Begin function _ZN19hipPrintfStressTest10startPrintEjjPjS0_
	.type	_ZN19hipPrintfStressTest10startPrintEjjPjS0_,@function
_ZN19hipPrintfStressTest10startPrintEjjPjS0_: ; @_ZN19hipPrintfStressTest10startPrintEjjPjS0_
; %bb.0:
	s_wait_loadcnt_dscnt 0x0
	s_wait_kmcnt 0x0
	s_mov_b32 s0, s33
	s_mov_b32 s33, s32
	s_or_saveexec_b32 s1, -1
	scratch_store_b32 off, v40, s33         ; 4-byte Folded Spill
	s_wait_xcnt 0x0
	s_mov_b32 exec_lo, s1
	v_writelane_b32 v40, s0, 3
	s_add_co_i32 s32, s32, 16
	v_writelane_b32 v40, s34, 0
	v_writelane_b32 v40, s30, 1
	;; [unrolled: 1-line block ×3, first 2 shown]
	v_dual_mov_b32 v31, v1 :: v_dual_mov_b32 v50, v0
	s_mov_b32 s16, 0
	s_mov_b32 s58, exec_lo
	s_delay_alu instid0(VALU_DEP_1)
	v_cmpx_ne_u32_e32 0, v31
	s_cbranch_execz .LBB3_1535
; %bb.1:
	v_mul_hi_u32 v0, 0x24924925, v50
	s_get_pc_i64 s[20:21]
	s_add_nc_u64 s[20:21], s[20:21], .str.5@rel64+4
	s_get_pc_i64 s[22:23]
	s_add_nc_u64 s[22:23], s[22:23], .str.4@rel64+4
	s_cmp_lg_u64 s[20:21], 0
	s_get_pc_i64 s[24:25]
	s_add_nc_u64 s[24:25], s[24:25], .str.3@rel64+4
	s_cselect_b32 s59, -1, 0
	s_cmp_lg_u64 s[22:23], 0
	s_get_pc_i64 s[26:27]
	s_add_nc_u64 s[26:27], s[26:27], .str@rel64+4
	s_cselect_b32 s60, -1, 0
	s_cmp_lg_u64 s[24:25], 0
	v_dual_mov_b32 v53, 0 :: v_dual_sub_nc_u32 v1, v50, v0
	s_get_pc_i64 s[28:29]
	s_add_nc_u64 s[28:29], s[28:29], .str.2@rel64+4
	s_cselect_b32 s61, -1, 0
	s_cmp_lg_u64 s[26:27], 0
	s_get_pc_i64 s[40:41]
	s_add_nc_u64 s[40:41], s[40:41], .str.1@rel64+4
	s_cselect_b32 s62, -1, 0
	s_cmp_lg_u64 s[28:29], 0
	;; [unrolled: 4-line block ×3, first 2 shown]
	v_dual_lshrrev_b32 v1, 1, v1 :: v_dual_mov_b32 v51, v53
	s_get_pc_i64 s[2:3]
	s_add_nc_u64 s[2:3], s[2:3], .str.14@rel64+4
	s_cselect_b32 s72, -1, 0
	s_cmp_lg_u64 s[0:1], 0
	s_get_pc_i64 s[42:43]
	s_add_nc_u64 s[42:43], s[42:43], .str.13@rel64+4
	s_cselect_b32 s73, 23, 0
	s_cmp_lg_u64 s[2:3], 0
	v_add_nc_u32_e32 v0, v1, v0
	s_get_pc_i64 s[4:5]
	s_add_nc_u64 s[4:5], s[4:5], .str.15@rel64+4
	s_cselect_b32 s74, 31, 0
	s_cmp_lg_u64 s[42:43], 0
	s_get_pc_i64 s[0:1]
	s_add_nc_u64 s[0:1], s[0:1], .str.16@rel64+4
	s_cselect_b32 s75, 0x47, 0
	s_cmp_lg_u64 s[4:5], 0
	;; [unrolled: 4-line block ×3, first 2 shown]
	v_dual_lshrrev_b32 v6, 2, v0 :: v_dual_mov_b32 v64, 33
	s_get_pc_i64 s[0:1]
	s_add_nc_u64 s[0:1], s[0:1], .str.18@rel64+4
	s_cselect_b32 s77, 17, 0
	s_cmp_lg_u64 s[2:3], 0
	s_get_pc_i64 s[2:3]
	s_add_nc_u64 s[2:3], s[2:3], .str.19@rel64+4
	s_cselect_b32 s78, 54, 0
	s_cmp_lg_u64 s[0:1], 0
	v_mul_lo_u32 v6, v6, 7
	s_get_pc_i64 s[0:1]
	s_add_nc_u64 s[0:1], s[0:1], .str.20@rel64+4
	s_cselect_b32 s79, 54, 0
	s_cmp_lg_u64 s[2:3], 0
	v_lshlrev_b64_e32 v[0:1], 2, v[50:51]
	s_get_pc_i64 s[2:3]
	s_add_nc_u64 s[2:3], s[2:3], .str.21@rel64+4
	s_cselect_b32 s88, 54, 0
	s_cmp_lg_u64 s[0:1], 0
	s_get_pc_i64 s[0:1]
	s_add_nc_u64 s[0:1], s[0:1], .str.22@rel64+4
	s_cselect_b32 s89, 54, 0
	s_cmp_lg_u64 s[2:3], 0
	;; [unrolled: 4-line block ×4, first 2 shown]
	v_add_nc_u64_e32 v[68:69], v[2:3], v[0:1]
	v_add_nc_u64_e32 v[70:71], v[4:5], v[0:1]
	v_mov_b64_e32 v[54:55], 0x100000002
	s_get_pc_i64 s[2:3]
	s_add_nc_u64 s[2:3], s[2:3], .str.25@rel64+4
	s_cselect_b32 s92, 60, 0
	s_cmp_lg_u64 s[0:1], 0
	v_sub_nc_u32_e32 v39, v50, v6
	v_mbcnt_lo_u32_b32 v80, -1, 0
	v_mov_b32_e32 v25, v53
	s_cselect_b32 s93, 60, 0
	s_cmp_lg_u64 s[2:3], 0
	s_mov_b64 s[14:15], s[8:9]
	s_cselect_b32 s94, 16, 0
	s_mov_b32 s95, 0
	s_mov_b32 vcc_hi, 0
	s_get_pc_i64 s[44:45]
	s_add_nc_u64 s[44:45], s[44:45], __ockl_printf_append_args@rel64+4
	s_branch .LBB3_3
.LBB3_2:                                ;   in Loop: Header=BB3_3 Depth=1
	s_mov_b64 s[8:9], s[14:15]
	s_swap_pc_i64 s[30:31], s[46:47]
	s_get_pc_i64 s[0:1]
	s_add_nc_u64 s[0:1], s[0:1], .str.14@rel64+4
	v_dual_mov_b32 v4, s74 :: v_dual_mov_b32 v5, v53
	v_dual_mov_b32 v2, s0 :: v_dual_mov_b32 v3, s1
	s_mov_b64 s[8:9], s[14:15]
	s_swap_pc_i64 s[30:31], s[18:19]
	s_get_pc_i64 s[56:57]
	s_add_nc_u64 s[56:57], s[56:57], .str.13@rel64+4
	v_dual_mov_b32 v4, s75 :: v_dual_mov_b32 v5, v53
	v_dual_mov_b32 v2, s56 :: v_dual_mov_b32 v3, s57
	s_mov_b64 s[8:9], s[14:15]
	s_swap_pc_i64 s[30:31], s[18:19]
	v_dual_mov_b32 v2, 0xf8a432eb :: v_dual_mov_b32 v3, v53
	v_mov_b32_e32 v4, v53
	s_mov_b64 s[8:9], s[14:15]
	s_swap_pc_i64 s[30:31], s[44:45]
	v_dual_mov_b32 v2, s56 :: v_dual_mov_b32 v3, s57
	v_dual_mov_b32 v4, s75 :: v_dual_mov_b32 v5, v53
	s_mov_b64 s[8:9], s[14:15]
	s_swap_pc_i64 s[30:31], s[18:19]
	v_dual_mov_b32 v2, 0x75bcd15 :: v_dual_mov_b32 v3, v53
	v_mov_b32_e32 v4, v53
	s_mov_b64 s[8:9], s[14:15]
	s_swap_pc_i64 s[30:31], s[44:45]
	;; [unrolled: 8-line block ×5, first 2 shown]
	s_mov_b64 s[8:9], s[14:15]
	v_mov_b32_e32 v38, v0
	s_swap_pc_i64 s[30:31], s[46:47]
	s_get_pc_i64 s[56:57]
	s_add_nc_u64 s[56:57], s[56:57], .str.15@rel64+4
	v_dual_mov_b32 v4, s76 :: v_dual_mov_b32 v5, v53
	v_dual_mov_b32 v2, s56 :: v_dual_mov_b32 v3, s57
	s_mov_b64 s[8:9], s[14:15]
	s_swap_pc_i64 s[30:31], s[18:19]
	v_bfrev_b32_e32 v2, 7
	v_dual_mov_b32 v3, 0x47efffff :: v_dual_mov_b32 v4, v53
	s_mov_b64 s[8:9], s[14:15]
	s_swap_pc_i64 s[30:31], s[44:45]
	v_dual_mov_b32 v2, v53 :: v_dual_mov_b32 v3, 0x38100000
	v_mov_b32_e32 v4, v53
	s_mov_b64 s[8:9], s[14:15]
	s_swap_pc_i64 s[30:31], s[44:45]
	v_bfrev_b32_e32 v2, 7
	v_dual_mov_b32 v3, 0x47efffff :: v_dual_mov_b32 v4, v53
	s_mov_b64 s[8:9], s[14:15]
	s_swap_pc_i64 s[30:31], s[44:45]
	v_dual_mov_b32 v2, v53 :: v_dual_mov_b32 v3, 0x38100000
	v_mov_b32_e32 v4, 1
	s_mov_b64 s[8:9], s[14:15]
	s_swap_pc_i64 s[30:31], s[44:45]
	s_mov_b64 s[8:9], s[14:15]
	v_add3_u32 v48, v48, v38, v0
	s_swap_pc_i64 s[30:31], s[46:47]
	v_dual_mov_b32 v2, s56 :: v_dual_mov_b32 v3, s57
	v_dual_mov_b32 v4, s76 :: v_dual_mov_b32 v5, v53
	s_mov_b64 s[8:9], s[14:15]
	s_swap_pc_i64 s[30:31], s[18:19]
	v_dual_mov_b32 v2, -1 :: v_dual_mov_b32 v3, 0x7fefffff
	v_mov_b32_e32 v4, v53
	s_mov_b64 s[8:9], s[14:15]
	s_swap_pc_i64 s[30:31], s[44:45]
	v_dual_mov_b32 v2, v53 :: v_dual_mov_b32 v3, 0x100000
	v_mov_b32_e32 v4, v53
	s_mov_b64 s[8:9], s[14:15]
	s_swap_pc_i64 s[30:31], s[44:45]
	v_dual_mov_b32 v2, -1 :: v_dual_mov_b32 v3, 0x7fefffff
	v_mov_b32_e32 v4, v53
	s_mov_b64 s[8:9], s[14:15]
	s_swap_pc_i64 s[30:31], s[44:45]
	v_dual_mov_b32 v2, v53 :: v_dual_mov_b32 v3, 0x100000
	v_mov_b32_e32 v4, 1
	s_mov_b64 s[8:9], s[14:15]
	s_swap_pc_i64 s[30:31], s[44:45]
	s_mov_b64 s[8:9], s[14:15]
	v_mov_b32_e32 v38, v0
	s_swap_pc_i64 s[30:31], s[46:47]
	s_get_pc_i64 s[56:57]
	s_add_nc_u64 s[56:57], s[56:57], .str.16@rel64+4
	v_dual_mov_b32 v4, s77 :: v_dual_mov_b32 v5, v53
	v_dual_mov_b32 v2, s56 :: v_dual_mov_b32 v3, s57
	s_mov_b64 s[8:9], s[14:15]
	s_swap_pc_i64 s[30:31], s[18:19]
	v_bfrev_b32_e32 v2, 7
	v_dual_mov_b32 v3, 0x47efffff :: v_dual_mov_b32 v4, v53
	s_mov_b64 s[8:9], s[14:15]
	s_swap_pc_i64 s[30:31], s[44:45]
	v_dual_mov_b32 v2, v53 :: v_dual_mov_b32 v3, 0x38100000
	v_mov_b32_e32 v4, v53
	s_mov_b64 s[8:9], s[14:15]
	s_swap_pc_i64 s[30:31], s[44:45]
	v_bfrev_b32_e32 v2, 7
	v_dual_mov_b32 v3, 0x47efffff :: v_dual_mov_b32 v4, v53
	s_mov_b64 s[8:9], s[14:15]
	s_swap_pc_i64 s[30:31], s[44:45]
	v_dual_mov_b32 v2, v53 :: v_dual_mov_b32 v3, 0x38100000
	v_mov_b32_e32 v4, 1
	s_mov_b64 s[8:9], s[14:15]
	s_swap_pc_i64 s[30:31], s[44:45]
	s_mov_b64 s[8:9], s[14:15]
	v_add3_u32 v48, v48, v38, v0
	s_swap_pc_i64 s[30:31], s[46:47]
	v_dual_mov_b32 v2, s56 :: v_dual_mov_b32 v3, s57
	v_dual_mov_b32 v4, s77 :: v_dual_mov_b32 v5, v53
	s_mov_b64 s[8:9], s[14:15]
	s_swap_pc_i64 s[30:31], s[18:19]
	v_dual_mov_b32 v2, -1 :: v_dual_mov_b32 v3, 0x7fefffff
	v_mov_b32_e32 v4, v53
	s_mov_b64 s[8:9], s[14:15]
	s_swap_pc_i64 s[30:31], s[44:45]
	v_dual_mov_b32 v2, v53 :: v_dual_mov_b32 v3, 0x100000
	v_mov_b32_e32 v4, v53
	s_mov_b64 s[8:9], s[14:15]
	s_swap_pc_i64 s[30:31], s[44:45]
	v_dual_mov_b32 v2, -1 :: v_dual_mov_b32 v3, 0x7fefffff
	v_mov_b32_e32 v4, v53
	s_mov_b64 s[8:9], s[14:15]
	s_swap_pc_i64 s[30:31], s[44:45]
	v_dual_mov_b32 v2, v53 :: v_dual_mov_b32 v3, 0x100000
	v_mov_b32_e32 v4, 1
	s_mov_b64 s[8:9], s[14:15]
	s_swap_pc_i64 s[30:31], s[44:45]
	s_mov_b64 s[8:9], s[14:15]
	v_mov_b32_e32 v38, v0
	s_swap_pc_i64 s[30:31], s[46:47]
	s_get_pc_i64 s[0:1]
	s_add_nc_u64 s[0:1], s[0:1], .str.17@rel64+4
	v_dual_mov_b32 v4, s78 :: v_dual_mov_b32 v5, v53
	v_dual_mov_b32 v2, s0 :: v_dual_mov_b32 v3, s1
	s_mov_b64 s[8:9], s[14:15]
	s_swap_pc_i64 s[30:31], s[18:19]
	v_dual_mov_b32 v2, -1 :: v_dual_mov_b32 v3, -1
	v_mov_b32_e32 v4, v53
	s_mov_b64 s[8:9], s[14:15]
	s_swap_pc_i64 s[30:31], s[44:45]
	v_dual_mov_b32 v2, v53 :: v_dual_mov_b32 v3, v53
	v_mov_b32_e32 v4, v53
	s_mov_b64 s[8:9], s[14:15]
	s_swap_pc_i64 s[30:31], s[44:45]
	v_dual_mov_b32 v2, -1 :: v_dual_mov_b32 v4, v53
	v_bfrev_b32_e32 v3, -2
	s_mov_b64 s[8:9], s[14:15]
	s_swap_pc_i64 s[30:31], s[44:45]
	v_dual_mov_b32 v2, v53 :: v_dual_mov_b32 v4, v53
	v_bfrev_b32_e32 v3, 1
	s_mov_b64 s[8:9], s[14:15]
	s_swap_pc_i64 s[30:31], s[44:45]
	v_dual_mov_b32 v2, -1 :: v_dual_mov_b32 v3, -1
	v_mov_b32_e32 v4, v53
	s_mov_b64 s[8:9], s[14:15]
	s_swap_pc_i64 s[30:31], s[44:45]
	v_dual_mov_b32 v2, v53 :: v_dual_mov_b32 v3, v53
	v_mov_b32_e32 v4, v53
	s_mov_b64 s[8:9], s[14:15]
	s_swap_pc_i64 s[30:31], s[44:45]
	v_dual_mov_b32 v2, -1 :: v_dual_mov_b32 v4, v53
	v_bfrev_b32_e32 v3, -2
	s_mov_b64 s[8:9], s[14:15]
	s_swap_pc_i64 s[30:31], s[44:45]
	v_dual_mov_b32 v2, v53 :: v_dual_mov_b32 v4, v53
	v_bfrev_b32_e32 v3, 1
	s_mov_b64 s[8:9], s[14:15]
	s_swap_pc_i64 s[30:31], s[44:45]
	v_dual_mov_b32 v2, -1 :: v_dual_mov_b32 v3, -1
	v_mov_b32_e32 v4, v53
	s_mov_b64 s[8:9], s[14:15]
	s_swap_pc_i64 s[30:31], s[44:45]
	v_dual_mov_b32 v2, v53 :: v_dual_mov_b32 v3, v53
	v_mov_b32_e32 v4, 1
	s_mov_b64 s[8:9], s[14:15]
	s_swap_pc_i64 s[30:31], s[44:45]
	s_mov_b64 s[8:9], s[14:15]
	v_add3_u32 v48, v48, v38, v0
	s_swap_pc_i64 s[30:31], s[46:47]
	s_get_pc_i64 s[0:1]
	s_add_nc_u64 s[0:1], s[0:1], .str.18@rel64+4
	v_dual_mov_b32 v4, s79 :: v_dual_mov_b32 v5, v53
	v_dual_mov_b32 v2, s0 :: v_dual_mov_b32 v3, s1
	s_mov_b64 s[8:9], s[14:15]
	s_swap_pc_i64 s[30:31], s[18:19]
	v_dual_mov_b32 v2, -1 :: v_dual_mov_b32 v3, -1
	v_mov_b32_e32 v4, v53
	s_mov_b64 s[8:9], s[14:15]
	s_swap_pc_i64 s[30:31], s[44:45]
	v_dual_mov_b32 v2, v53 :: v_dual_mov_b32 v3, v53
	v_mov_b32_e32 v4, v53
	s_mov_b64 s[8:9], s[14:15]
	s_swap_pc_i64 s[30:31], s[44:45]
	v_dual_mov_b32 v2, -1 :: v_dual_mov_b32 v4, v53
	v_bfrev_b32_e32 v3, -2
	s_mov_b64 s[8:9], s[14:15]
	s_swap_pc_i64 s[30:31], s[44:45]
	v_dual_mov_b32 v2, v53 :: v_dual_mov_b32 v4, v53
	v_bfrev_b32_e32 v3, 1
	s_mov_b64 s[8:9], s[14:15]
	s_swap_pc_i64 s[30:31], s[44:45]
	v_dual_mov_b32 v2, -1 :: v_dual_mov_b32 v3, -1
	v_mov_b32_e32 v4, v53
	s_mov_b64 s[8:9], s[14:15]
	s_swap_pc_i64 s[30:31], s[44:45]
	v_dual_mov_b32 v2, v53 :: v_dual_mov_b32 v3, v53
	v_mov_b32_e32 v4, v53
	s_mov_b64 s[8:9], s[14:15]
	s_swap_pc_i64 s[30:31], s[44:45]
	v_dual_mov_b32 v2, -1 :: v_dual_mov_b32 v4, v53
	v_bfrev_b32_e32 v3, -2
	s_mov_b64 s[8:9], s[14:15]
	s_swap_pc_i64 s[30:31], s[44:45]
	v_dual_mov_b32 v2, v53 :: v_dual_mov_b32 v4, v53
	v_bfrev_b32_e32 v3, 1
	s_mov_b64 s[8:9], s[14:15]
	s_swap_pc_i64 s[30:31], s[44:45]
	v_dual_mov_b32 v2, -1 :: v_dual_mov_b32 v3, -1
	v_mov_b32_e32 v4, v53
	s_mov_b64 s[8:9], s[14:15]
	s_swap_pc_i64 s[30:31], s[44:45]
	v_dual_mov_b32 v2, v53 :: v_dual_mov_b32 v3, v53
	v_mov_b32_e32 v4, 1
	s_mov_b64 s[8:9], s[14:15]
	s_swap_pc_i64 s[30:31], s[44:45]
	s_mov_b64 s[8:9], s[14:15]
	v_mov_b32_e32 v38, v0
	s_swap_pc_i64 s[30:31], s[46:47]
	s_get_pc_i64 s[0:1]
	s_add_nc_u64 s[0:1], s[0:1], .str.19@rel64+4
	v_dual_mov_b32 v4, s88 :: v_dual_mov_b32 v5, v53
	v_dual_mov_b32 v2, s0 :: v_dual_mov_b32 v3, s1
	s_mov_b64 s[8:9], s[14:15]
	s_swap_pc_i64 s[30:31], s[18:19]
	v_dual_mov_b32 v2, -1 :: v_dual_mov_b32 v3, -1
	v_mov_b32_e32 v4, v53
	s_mov_b64 s[8:9], s[14:15]
	s_swap_pc_i64 s[30:31], s[44:45]
	v_dual_mov_b32 v2, v53 :: v_dual_mov_b32 v3, v53
	v_mov_b32_e32 v4, v53
	s_mov_b64 s[8:9], s[14:15]
	s_swap_pc_i64 s[30:31], s[44:45]
	v_dual_mov_b32 v2, -1 :: v_dual_mov_b32 v4, v53
	v_bfrev_b32_e32 v3, -2
	s_mov_b64 s[8:9], s[14:15]
	s_swap_pc_i64 s[30:31], s[44:45]
	v_dual_mov_b32 v2, v53 :: v_dual_mov_b32 v4, v53
	v_bfrev_b32_e32 v3, 1
	s_mov_b64 s[8:9], s[14:15]
	s_swap_pc_i64 s[30:31], s[44:45]
	v_dual_mov_b32 v2, -1 :: v_dual_mov_b32 v3, -1
	v_mov_b32_e32 v4, v53
	s_mov_b64 s[8:9], s[14:15]
	s_swap_pc_i64 s[30:31], s[44:45]
	v_dual_mov_b32 v2, v53 :: v_dual_mov_b32 v3, v53
	v_mov_b32_e32 v4, v53
	s_mov_b64 s[8:9], s[14:15]
	s_swap_pc_i64 s[30:31], s[44:45]
	v_dual_mov_b32 v2, -1 :: v_dual_mov_b32 v4, v53
	v_bfrev_b32_e32 v3, -2
	s_mov_b64 s[8:9], s[14:15]
	s_swap_pc_i64 s[30:31], s[44:45]
	v_dual_mov_b32 v2, v53 :: v_dual_mov_b32 v4, v53
	v_bfrev_b32_e32 v3, 1
	s_mov_b64 s[8:9], s[14:15]
	s_swap_pc_i64 s[30:31], s[44:45]
	v_dual_mov_b32 v2, -1 :: v_dual_mov_b32 v3, -1
	v_mov_b32_e32 v4, v53
	s_mov_b64 s[8:9], s[14:15]
	s_swap_pc_i64 s[30:31], s[44:45]
	v_dual_mov_b32 v2, v53 :: v_dual_mov_b32 v3, v53
	v_mov_b32_e32 v4, 1
	s_mov_b64 s[8:9], s[14:15]
	s_swap_pc_i64 s[30:31], s[44:45]
	s_mov_b64 s[8:9], s[14:15]
	v_add3_u32 v48, v48, v38, v0
	s_swap_pc_i64 s[30:31], s[46:47]
	s_get_pc_i64 s[0:1]
	s_add_nc_u64 s[0:1], s[0:1], .str.20@rel64+4
	v_dual_mov_b32 v4, s89 :: v_dual_mov_b32 v5, v53
	v_dual_mov_b32 v2, s0 :: v_dual_mov_b32 v3, s1
	s_mov_b64 s[8:9], s[14:15]
	s_swap_pc_i64 s[30:31], s[18:19]
	v_dual_mov_b32 v2, -1 :: v_dual_mov_b32 v3, -1
	v_mov_b32_e32 v4, v53
	s_mov_b64 s[8:9], s[14:15]
	s_swap_pc_i64 s[30:31], s[44:45]
	v_dual_mov_b32 v2, v53 :: v_dual_mov_b32 v3, v53
	v_mov_b32_e32 v4, v53
	s_mov_b64 s[8:9], s[14:15]
	s_swap_pc_i64 s[30:31], s[44:45]
	v_dual_mov_b32 v2, -1 :: v_dual_mov_b32 v4, v53
	v_bfrev_b32_e32 v3, -2
	s_mov_b64 s[8:9], s[14:15]
	s_swap_pc_i64 s[30:31], s[44:45]
	v_dual_mov_b32 v2, v53 :: v_dual_mov_b32 v4, v53
	v_bfrev_b32_e32 v3, 1
	s_mov_b64 s[8:9], s[14:15]
	s_swap_pc_i64 s[30:31], s[44:45]
	v_dual_mov_b32 v2, -1 :: v_dual_mov_b32 v3, -1
	v_mov_b32_e32 v4, v53
	s_mov_b64 s[8:9], s[14:15]
	s_swap_pc_i64 s[30:31], s[44:45]
	v_dual_mov_b32 v2, v53 :: v_dual_mov_b32 v3, v53
	v_mov_b32_e32 v4, v53
	s_mov_b64 s[8:9], s[14:15]
	s_swap_pc_i64 s[30:31], s[44:45]
	v_dual_mov_b32 v2, -1 :: v_dual_mov_b32 v4, v53
	v_bfrev_b32_e32 v3, -2
	s_mov_b64 s[8:9], s[14:15]
	s_swap_pc_i64 s[30:31], s[44:45]
	v_dual_mov_b32 v2, v53 :: v_dual_mov_b32 v4, v53
	v_bfrev_b32_e32 v3, 1
	s_mov_b64 s[8:9], s[14:15]
	s_swap_pc_i64 s[30:31], s[44:45]
	v_dual_mov_b32 v2, -1 :: v_dual_mov_b32 v3, -1
	v_mov_b32_e32 v4, v53
	s_mov_b64 s[8:9], s[14:15]
	s_swap_pc_i64 s[30:31], s[44:45]
	v_dual_mov_b32 v2, v53 :: v_dual_mov_b32 v3, v53
	v_mov_b32_e32 v4, 1
	s_mov_b64 s[8:9], s[14:15]
	s_swap_pc_i64 s[30:31], s[44:45]
	s_mov_b64 s[8:9], s[14:15]
	v_mov_b32_e32 v38, v0
	s_swap_pc_i64 s[30:31], s[46:47]
	s_get_pc_i64 s[0:1]
	s_add_nc_u64 s[0:1], s[0:1], .str.21@rel64+4
	v_dual_mov_b32 v4, s90 :: v_dual_mov_b32 v5, v53
	v_dual_mov_b32 v2, s0 :: v_dual_mov_b32 v3, s1
	s_mov_b64 s[8:9], s[14:15]
	s_swap_pc_i64 s[30:31], s[18:19]
	v_dual_mov_b32 v2, 0x7fff :: v_dual_mov_b32 v3, v53
	v_mov_b32_e32 v4, v53
	s_mov_b64 s[8:9], s[14:15]
	s_swap_pc_i64 s[30:31], s[44:45]
	v_dual_mov_b32 v2, 0xffff8000 :: v_dual_mov_b32 v3, v53
	v_mov_b32_e32 v4, v53
	;; [unrolled: 4-line block ×8, first 2 shown]
	s_mov_b64 s[8:9], s[14:15]
	s_swap_pc_i64 s[30:31], s[44:45]
	v_bfrev_b32_e32 v2, -2
	v_dual_mov_b32 v3, v53 :: v_dual_mov_b32 v4, v53
	s_mov_b64 s[8:9], s[14:15]
	s_swap_pc_i64 s[30:31], s[44:45]
	v_bfrev_b32_e32 v2, 1
	v_dual_mov_b32 v3, v53 :: v_dual_mov_b32 v4, v53
	s_mov_b64 s[8:9], s[14:15]
	s_swap_pc_i64 s[30:31], s[44:45]
	v_dual_mov_b32 v2, -1 :: v_dual_mov_b32 v3, v53
	v_mov_b32_e32 v4, v53
	s_mov_b64 s[8:9], s[14:15]
	s_swap_pc_i64 s[30:31], s[44:45]
	v_dual_mov_b32 v2, v53 :: v_dual_mov_b32 v3, v53
	v_mov_b32_e32 v4, 1
	s_mov_b64 s[8:9], s[14:15]
	s_swap_pc_i64 s[30:31], s[44:45]
	s_mov_b64 s[8:9], s[14:15]
	v_add3_u32 v48, v48, v38, v0
	s_swap_pc_i64 s[30:31], s[46:47]
	s_get_pc_i64 s[0:1]
	s_add_nc_u64 s[0:1], s[0:1], .str.22@rel64+4
	v_dual_mov_b32 v4, s91 :: v_dual_mov_b32 v5, v53
	v_dual_mov_b32 v2, s0 :: v_dual_mov_b32 v3, s1
	s_mov_b64 s[8:9], s[14:15]
	s_swap_pc_i64 s[30:31], s[18:19]
	v_dual_mov_b32 v2, 0x7fff :: v_dual_mov_b32 v3, v53
	v_mov_b32_e32 v4, v53
	s_mov_b64 s[8:9], s[14:15]
	s_swap_pc_i64 s[30:31], s[44:45]
	v_dual_mov_b32 v2, 0xffff8000 :: v_dual_mov_b32 v3, v53
	v_mov_b32_e32 v4, v53
	;; [unrolled: 4-line block ×8, first 2 shown]
	s_mov_b64 s[8:9], s[14:15]
	s_swap_pc_i64 s[30:31], s[44:45]
	v_bfrev_b32_e32 v2, -2
	v_dual_mov_b32 v3, v53 :: v_dual_mov_b32 v4, v53
	s_mov_b64 s[8:9], s[14:15]
	s_swap_pc_i64 s[30:31], s[44:45]
	v_bfrev_b32_e32 v2, 1
	v_dual_mov_b32 v3, v53 :: v_dual_mov_b32 v4, v53
	s_mov_b64 s[8:9], s[14:15]
	s_swap_pc_i64 s[30:31], s[44:45]
	v_dual_mov_b32 v2, -1 :: v_dual_mov_b32 v3, v53
	v_mov_b32_e32 v4, v53
	s_mov_b64 s[8:9], s[14:15]
	s_swap_pc_i64 s[30:31], s[44:45]
	v_dual_mov_b32 v2, v53 :: v_dual_mov_b32 v3, v53
	v_mov_b32_e32 v4, 1
	s_mov_b64 s[8:9], s[14:15]
	s_swap_pc_i64 s[30:31], s[44:45]
	s_mov_b64 s[8:9], s[14:15]
	v_mov_b32_e32 v38, v0
	s_swap_pc_i64 s[30:31], s[46:47]
	s_get_pc_i64 s[0:1]
	s_add_nc_u64 s[0:1], s[0:1], .str.23@rel64+4
	v_dual_mov_b32 v4, s92 :: v_dual_mov_b32 v5, v53
	v_dual_mov_b32 v2, s0 :: v_dual_mov_b32 v3, s1
	s_mov_b64 s[8:9], s[14:15]
	s_swap_pc_i64 s[30:31], s[18:19]
	v_dual_mov_b32 v2, 0x7fff :: v_dual_mov_b32 v3, v53
	v_mov_b32_e32 v4, v53
	s_mov_b64 s[8:9], s[14:15]
	s_swap_pc_i64 s[30:31], s[44:45]
	v_dual_mov_b32 v2, 0xffff8000 :: v_dual_mov_b32 v3, v53
	v_mov_b32_e32 v4, v53
	;; [unrolled: 4-line block ×8, first 2 shown]
	s_mov_b64 s[8:9], s[14:15]
	s_swap_pc_i64 s[30:31], s[44:45]
	v_bfrev_b32_e32 v2, -2
	v_dual_mov_b32 v3, v53 :: v_dual_mov_b32 v4, v53
	s_mov_b64 s[8:9], s[14:15]
	s_swap_pc_i64 s[30:31], s[44:45]
	v_bfrev_b32_e32 v2, 1
	v_dual_mov_b32 v3, v53 :: v_dual_mov_b32 v4, v53
	s_mov_b64 s[8:9], s[14:15]
	s_swap_pc_i64 s[30:31], s[44:45]
	v_dual_mov_b32 v2, -1 :: v_dual_mov_b32 v3, v53
	v_mov_b32_e32 v4, v53
	s_mov_b64 s[8:9], s[14:15]
	s_swap_pc_i64 s[30:31], s[44:45]
	v_dual_mov_b32 v2, v53 :: v_dual_mov_b32 v3, v53
	v_mov_b32_e32 v4, 1
	s_mov_b64 s[8:9], s[14:15]
	s_swap_pc_i64 s[30:31], s[44:45]
	s_mov_b64 s[8:9], s[14:15]
	v_add3_u32 v48, v48, v38, v0
	s_swap_pc_i64 s[30:31], s[46:47]
	s_get_pc_i64 s[0:1]
	s_add_nc_u64 s[0:1], s[0:1], .str.24@rel64+4
	v_dual_mov_b32 v4, s93 :: v_dual_mov_b32 v5, v53
	v_dual_mov_b32 v2, s0 :: v_dual_mov_b32 v3, s1
	s_mov_b64 s[8:9], s[14:15]
	s_swap_pc_i64 s[30:31], s[18:19]
	v_dual_mov_b32 v2, 0x7fff :: v_dual_mov_b32 v3, v53
	v_mov_b32_e32 v4, v53
	s_mov_b64 s[8:9], s[14:15]
	s_swap_pc_i64 s[30:31], s[44:45]
	v_dual_mov_b32 v2, 0xffff8000 :: v_dual_mov_b32 v3, v53
	v_mov_b32_e32 v4, v53
	;; [unrolled: 4-line block ×8, first 2 shown]
	s_mov_b64 s[8:9], s[14:15]
	s_swap_pc_i64 s[30:31], s[44:45]
	v_bfrev_b32_e32 v2, -2
	v_dual_mov_b32 v3, v53 :: v_dual_mov_b32 v4, v53
	s_mov_b64 s[8:9], s[14:15]
	s_swap_pc_i64 s[30:31], s[44:45]
	v_bfrev_b32_e32 v2, 1
	v_dual_mov_b32 v3, v53 :: v_dual_mov_b32 v4, v53
	s_mov_b64 s[8:9], s[14:15]
	s_swap_pc_i64 s[30:31], s[44:45]
	v_dual_mov_b32 v2, -1 :: v_dual_mov_b32 v3, v53
	v_mov_b32_e32 v4, v53
	s_mov_b64 s[8:9], s[14:15]
	s_swap_pc_i64 s[30:31], s[44:45]
	v_dual_mov_b32 v2, v53 :: v_dual_mov_b32 v3, v53
	v_mov_b32_e32 v4, 1
	s_mov_b64 s[8:9], s[14:15]
	s_swap_pc_i64 s[30:31], s[44:45]
	s_mov_b64 s[8:9], s[14:15]
	v_mov_b32_e32 v38, v0
	s_swap_pc_i64 s[30:31], s[46:47]
	s_get_pc_i64 s[0:1]
	s_add_nc_u64 s[0:1], s[0:1], .str.25@rel64+4
	v_dual_mov_b32 v4, s94 :: v_dual_mov_b32 v5, v53
	v_dual_mov_b32 v2, s0 :: v_dual_mov_b32 v3, s1
	s_mov_b64 s[8:9], s[14:15]
	s_swap_pc_i64 s[30:31], s[18:19]
	v_dual_mov_b32 v2, 0x7f :: v_dual_mov_b32 v3, v53
	v_mov_b32_e32 v4, v53
	s_mov_b64 s[8:9], s[14:15]
	s_swap_pc_i64 s[30:31], s[44:45]
	v_dual_mov_b32 v2, 0xffffff80 :: v_dual_mov_b32 v3, v53
	v_mov_b32_e32 v4, v53
	;; [unrolled: 4-line block ×4, first 2 shown]
	s_mov_b64 s[8:9], s[14:15]
	s_swap_pc_i64 s[30:31], s[44:45]
	s_add_co_i32 vcc_hi, vcc_hi, 1
	v_add3_u32 v25, v48, v38, v0
	v_cmp_eq_u32_e32 vcc_lo, vcc_hi, v31
	s_or_b32 s95, vcc_lo, s95
	s_delay_alu instid0(SALU_CYCLE_1)
	s_and_not1_b32 exec_lo, exec_lo, s95
	s_cbranch_execz .LBB3_1535
.LBB3_3:                                ; =>This Loop Header: Depth=1
                                        ;     Child Loop BB3_9 Depth 2
                                        ;     Child Loop BB3_17 Depth 2
	;; [unrolled: 1-line block ×9, first 2 shown]
                                        ;       Child Loop BB3_38 Depth 3
                                        ;       Child Loop BB3_45 Depth 3
	;; [unrolled: 1-line block ×11, first 2 shown]
                                        ;     Child Loop BB3_142 Depth 2
                                        ;     Child Loop BB3_150 Depth 2
                                        ;     Child Loop BB3_159 Depth 2
                                        ;     Child Loop BB3_164 Depth 2
                                        ;     Child Loop BB3_170 Depth 2
                                        ;     Child Loop BB3_178 Depth 2
                                        ;     Child Loop BB3_187 Depth 2
                                        ;     Child Loop BB3_299 Depth 2
                                        ;     Child Loop BB3_625 Depth 2
                                        ;     Child Loop BB3_633 Depth 2
                                        ;     Child Loop BB3_642 Depth 2
                                        ;     Child Loop BB3_647 Depth 2
                                        ;     Child Loop BB3_303 Depth 2
                                        ;       Child Loop BB3_306 Depth 3
                                        ;       Child Loop BB3_313 Depth 3
                                        ;       Child Loop BB3_320 Depth 3
                                        ;       Child Loop BB3_327 Depth 3
                                        ;       Child Loop BB3_334 Depth 3
                                        ;       Child Loop BB3_341 Depth 3
                                        ;       Child Loop BB3_348 Depth 3
                                        ;       Child Loop BB3_355 Depth 3
                                        ;       Child Loop BB3_363 Depth 3
                                        ;       Child Loop BB3_372 Depth 3
                                        ;       Child Loop BB3_377 Depth 3
                                        ;     Child Loop BB3_652 Depth 2
                                        ;     Child Loop BB3_660 Depth 2
                                        ;     Child Loop BB3_669 Depth 2
                                        ;     Child Loop BB3_674 Depth 2
                                        ;     Child Loop BB3_678 Depth 2
                                        ;     Child Loop BB3_686 Depth 2
                                        ;     Child Loop BB3_695 Depth 2
                                        ;     Child Loop BB3_700 Depth 2
                                        ;     Child Loop BB3_704 Depth 2
                                        ;     Child Loop BB3_712 Depth 2
                                        ;     Child Loop BB3_721 Depth 2
                                        ;     Child Loop BB3_726 Depth 2
                                        ;     Child Loop BB3_730 Depth 2
                                        ;     Child Loop BB3_738 Depth 2
                                        ;     Child Loop BB3_747 Depth 2
                                        ;     Child Loop BB3_752 Depth 2
                                        ;     Child Loop BB3_194 Depth 2
                                        ;     Child Loop BB3_202 Depth 2
                                        ;     Child Loop BB3_211 Depth 2
                                        ;     Child Loop BB3_216 Depth 2
                                        ;     Child Loop BB3_382 Depth 2
                                        ;     Child Loop BB3_390 Depth 2
                                        ;     Child Loop BB3_399 Depth 2
                                        ;     Child Loop BB3_404 Depth 2
                                        ;     Child Loop BB3_220 Depth 2
                                        ;       Child Loop BB3_223 Depth 3
                                        ;       Child Loop BB3_230 Depth 3
                                        ;       Child Loop BB3_237 Depth 3
                                        ;       Child Loop BB3_244 Depth 3
                                        ;       Child Loop BB3_251 Depth 3
                                        ;       Child Loop BB3_258 Depth 3
                                        ;       Child Loop BB3_265 Depth 3
                                        ;       Child Loop BB3_272 Depth 3
                                        ;       Child Loop BB3_280 Depth 3
                                        ;       Child Loop BB3_289 Depth 3
                                        ;       Child Loop BB3_294 Depth 3
                                        ;     Child Loop BB3_409 Depth 2
                                        ;     Child Loop BB3_417 Depth 2
                                        ;     Child Loop BB3_426 Depth 2
                                        ;     Child Loop BB3_431 Depth 2
                                        ;     Child Loop BB3_435 Depth 2
                                        ;     Child Loop BB3_443 Depth 2
                                        ;     Child Loop BB3_452 Depth 2
                                        ;     Child Loop BB3_457 Depth 2
                                        ;     Child Loop BB3_461 Depth 2
                                        ;     Child Loop BB3_469 Depth 2
                                        ;     Child Loop BB3_478 Depth 2
                                        ;     Child Loop BB3_483 Depth 2
	;; [unrolled: 36-line block ×3, first 2 shown]
                                        ;     Child Loop BB3_865 Depth 2
                                        ;     Child Loop BB3_873 Depth 2
                                        ;     Child Loop BB3_882 Depth 2
                                        ;     Child Loop BB3_912 Depth 2
                                        ;     Child Loop BB3_1079 Depth 2
                                        ;     Child Loop BB3_1087 Depth 2
                                        ;     Child Loop BB3_1096 Depth 2
                                        ;     Child Loop BB3_1101 Depth 2
                                        ;     Child Loop BB3_916 Depth 2
                                        ;       Child Loop BB3_919 Depth 3
                                        ;       Child Loop BB3_926 Depth 3
                                        ;       Child Loop BB3_933 Depth 3
                                        ;       Child Loop BB3_940 Depth 3
                                        ;       Child Loop BB3_947 Depth 3
                                        ;       Child Loop BB3_954 Depth 3
                                        ;       Child Loop BB3_961 Depth 3
                                        ;       Child Loop BB3_968 Depth 3
                                        ;       Child Loop BB3_976 Depth 3
                                        ;       Child Loop BB3_985 Depth 3
                                        ;       Child Loop BB3_990 Depth 3
                                        ;     Child Loop BB3_1106 Depth 2
                                        ;     Child Loop BB3_1114 Depth 2
                                        ;     Child Loop BB3_1123 Depth 2
                                        ;     Child Loop BB3_1128 Depth 2
                                        ;     Child Loop BB3_1132 Depth 2
                                        ;     Child Loop BB3_1140 Depth 2
                                        ;     Child Loop BB3_1149 Depth 2
                                        ;     Child Loop BB3_1154 Depth 2
                                        ;     Child Loop BB3_1158 Depth 2
                                        ;     Child Loop BB3_1166 Depth 2
                                        ;     Child Loop BB3_1175 Depth 2
                                        ;     Child Loop BB3_1180 Depth 2
                                        ;     Child Loop BB3_890 Depth 2
                                        ;     Child Loop BB3_898 Depth 2
                                        ;     Child Loop BB3_907 Depth 2
                                        ;     Child Loop BB3_994 Depth 2
                                        ;     Child Loop BB3_1186 Depth 2
                                        ;     Child Loop BB3_1194 Depth 2
                                        ;     Child Loop BB3_1203 Depth 2
                                        ;     Child Loop BB3_1208 Depth 2
                                        ;     Child Loop BB3_998 Depth 2
                                        ;       Child Loop BB3_1001 Depth 3
                                        ;       Child Loop BB3_1008 Depth 3
                                        ;       Child Loop BB3_1015 Depth 3
                                        ;       Child Loop BB3_1022 Depth 3
                                        ;       Child Loop BB3_1029 Depth 3
                                        ;       Child Loop BB3_1036 Depth 3
                                        ;       Child Loop BB3_1043 Depth 3
                                        ;       Child Loop BB3_1050 Depth 3
                                        ;       Child Loop BB3_1058 Depth 3
                                        ;       Child Loop BB3_1067 Depth 3
                                        ;       Child Loop BB3_1072 Depth 3
                                        ;     Child Loop BB3_1213 Depth 2
                                        ;     Child Loop BB3_1221 Depth 2
                                        ;     Child Loop BB3_1230 Depth 2
                                        ;     Child Loop BB3_1235 Depth 2
                                        ;     Child Loop BB3_1239 Depth 2
                                        ;     Child Loop BB3_1247 Depth 2
                                        ;     Child Loop BB3_1256 Depth 2
                                        ;     Child Loop BB3_1261 Depth 2
                                        ;     Child Loop BB3_1265 Depth 2
                                        ;     Child Loop BB3_1273 Depth 2
                                        ;     Child Loop BB3_1282 Depth 2
                                        ;     Child Loop BB3_1287 Depth 2
	;; [unrolled: 32-line block ×3, first 2 shown]
                                        ;     Child Loop BB3_1505 Depth 2
                                        ;       Child Loop BB3_1530 Depth 3
	flat_load_b32 v30, v[68:69]
                                        ; implicit-def: $vgpr0_vgpr1
	s_mov_b32 s0, exec_lo
	s_wait_xcnt 0x0
	v_cmpx_lt_i32_e32 3, v39
	s_xor_b32 s46, exec_lo, s0
	s_cbranch_execz .LBB3_512
; %bb.4:                                ;   in Loop: Header=BB3_3 Depth=1
                                        ; implicit-def: $vgpr0_vgpr1
	s_mov_b32 s0, exec_lo
	v_cmpx_lt_i32_e32 4, v39
	s_xor_b32 s47, exec_lo, s0
	s_cbranch_execz .LBB3_190
; %bb.5:                                ;   in Loop: Header=BB3_3 Depth=1
                                        ; implicit-def: $vgpr0_vgpr1
	s_mov_b32 s0, exec_lo
	v_cmpx_lt_i32_e32 5, v39
	s_xor_b32 s56, exec_lo, s0
	s_cbranch_execz .LBB3_166
; %bb.6:                                ;   in Loop: Header=BB3_3 Depth=1
	flat_load_b32 v32, v[70:71]
	s_load_b64 s[2:3], s[14:15], 0x50
	v_readfirstlane_b32 s0, v80
	v_mov_b64_e32 v[4:5], 0
	s_delay_alu instid0(VALU_DEP_2)
	v_cmp_eq_u32_e64 s0, s0, v80
	s_and_saveexec_b32 s1, s0
	s_cbranch_execz .LBB3_12
; %bb.7:                                ;   in Loop: Header=BB3_3 Depth=1
	s_wait_kmcnt 0x0
	global_load_b64 v[2:3], v53, s[2:3] offset:24 scope:SCOPE_SYS
	s_wait_loadcnt 0x0
	global_inv scope:SCOPE_SYS
	s_clause 0x1
	global_load_b64 v[0:1], v53, s[2:3] offset:40
	global_load_b64 v[4:5], v53, s[2:3]
	s_mov_b32 s4, exec_lo
	s_wait_loadcnt 0x1
	v_and_b32_e32 v0, v0, v2
	v_and_b32_e32 v1, v1, v3
	s_delay_alu instid0(VALU_DEP_1) | instskip(SKIP_1) | instid1(VALU_DEP_1)
	v_mul_u64_e32 v[0:1], 24, v[0:1]
	s_wait_loadcnt 0x0
	v_add_nc_u64_e32 v[0:1], v[4:5], v[0:1]
	global_load_b64 v[0:1], v[0:1], off scope:SCOPE_SYS
	s_wait_xcnt 0x0
	s_wait_loadcnt 0x0
	global_atomic_cmpswap_b64 v[4:5], v53, v[0:3], s[2:3] offset:24 th:TH_ATOMIC_RETURN scope:SCOPE_SYS
	s_wait_loadcnt 0x0
	global_inv scope:SCOPE_SYS
	s_wait_xcnt 0x0
	v_cmpx_ne_u64_e64 v[4:5], v[2:3]
	s_cbranch_execz .LBB3_11
; %bb.8:                                ;   in Loop: Header=BB3_3 Depth=1
	s_mov_b32 s5, 0
.LBB3_9:                                ;   Parent Loop BB3_3 Depth=1
                                        ; =>  This Inner Loop Header: Depth=2
	s_sleep 1
	s_clause 0x1
	global_load_b64 v[0:1], v53, s[2:3] offset:40
	global_load_b64 v[6:7], v53, s[2:3]
	v_mov_b64_e32 v[2:3], v[4:5]
	s_wait_loadcnt 0x1
	s_delay_alu instid0(VALU_DEP_1) | instskip(SKIP_1) | instid1(VALU_DEP_1)
	v_and_b32_e32 v0, v0, v2
	s_wait_loadcnt 0x0
	v_mad_nc_u64_u32 v[4:5], v0, 24, v[6:7]
	s_delay_alu instid0(VALU_DEP_3) | instskip(NEXT) | instid1(VALU_DEP_1)
	v_and_b32_e32 v0, v1, v3
	v_mad_u32 v5, v0, 24, v5
	global_load_b64 v[0:1], v[4:5], off scope:SCOPE_SYS
	s_wait_xcnt 0x0
	s_wait_loadcnt 0x0
	global_atomic_cmpswap_b64 v[4:5], v53, v[0:3], s[2:3] offset:24 th:TH_ATOMIC_RETURN scope:SCOPE_SYS
	s_wait_loadcnt 0x0
	global_inv scope:SCOPE_SYS
	v_cmp_eq_u64_e32 vcc_lo, v[4:5], v[2:3]
	s_or_b32 s5, vcc_lo, s5
	s_wait_xcnt 0x0
	s_and_not1_b32 exec_lo, exec_lo, s5
	s_cbranch_execnz .LBB3_9
; %bb.10:                               ;   in Loop: Header=BB3_3 Depth=1
	s_or_b32 exec_lo, exec_lo, s5
.LBB3_11:                               ;   in Loop: Header=BB3_3 Depth=1
	s_delay_alu instid0(SALU_CYCLE_1)
	s_or_b32 exec_lo, exec_lo, s4
.LBB3_12:                               ;   in Loop: Header=BB3_3 Depth=1
	s_delay_alu instid0(SALU_CYCLE_1)
	s_or_b32 exec_lo, exec_lo, s1
	s_wait_kmcnt 0x0
	s_clause 0x1
	global_load_b64 v[6:7], v53, s[2:3] offset:40
	global_load_b128 v[0:3], v53, s[2:3]
	v_readfirstlane_b32 s4, v4
	v_readfirstlane_b32 s5, v5
	s_mov_b32 s1, exec_lo
	s_wait_loadcnt 0x1
	v_and_b32_e32 v6, s4, v6
	v_and_b32_e32 v7, s5, v7
	s_delay_alu instid0(VALU_DEP_1) | instskip(SKIP_1) | instid1(VALU_DEP_1)
	v_mul_u64_e32 v[4:5], 24, v[6:7]
	s_wait_loadcnt 0x0
	v_add_nc_u64_e32 v[4:5], v[0:1], v[4:5]
	s_wait_xcnt 0x0
	s_and_saveexec_b32 s6, s0
	s_cbranch_execz .LBB3_14
; %bb.13:                               ;   in Loop: Header=BB3_3 Depth=1
	v_mov_b32_e32 v52, s1
	global_store_b128 v[4:5], v[52:55], off offset:8
.LBB3_14:                               ;   in Loop: Header=BB3_3 Depth=1
	s_wait_xcnt 0x0
	s_or_b32 exec_lo, exec_lo, s6
	v_lshlrev_b64_e32 v[6:7], 12, v[6:7]
	s_mov_b32 s17, s16
	s_mov_b32 s18, s16
	;; [unrolled: 1-line block ×3, first 2 shown]
	v_mov_b64_e32 v[8:9], s[16:17]
	v_mov_b64_e32 v[10:11], s[18:19]
	v_dual_mov_b32 v65, v53 :: v_dual_lshlrev_b32 v22, 6, v80
	v_add_nc_u64_e32 v[6:7], v[2:3], v[6:7]
	v_dual_mov_b32 v66, v53 :: v_dual_mov_b32 v67, v53
	s_delay_alu instid0(VALU_DEP_2) | instskip(NEXT) | instid1(VALU_DEP_3)
	v_readfirstlane_b32 s6, v6
	v_readfirstlane_b32 s7, v7
	s_clause 0x3
	global_store_b128 v22, v[64:67], s[6:7]
	global_store_b128 v22, v[8:11], s[6:7] offset:16
	global_store_b128 v22, v[8:11], s[6:7] offset:32
	;; [unrolled: 1-line block ×3, first 2 shown]
	s_wait_xcnt 0x0
	s_and_saveexec_b32 s1, s0
	s_cbranch_execz .LBB3_22
; %bb.15:                               ;   in Loop: Header=BB3_3 Depth=1
	s_clause 0x1
	global_load_b64 v[12:13], v53, s[2:3] offset:32 scope:SCOPE_SYS
	global_load_b64 v[2:3], v53, s[2:3] offset:40
	s_mov_b32 s6, exec_lo
	v_dual_mov_b32 v10, s4 :: v_dual_mov_b32 v11, s5
	s_wait_loadcnt 0x0
	v_and_b32_e32 v3, s5, v3
	v_and_b32_e32 v2, s4, v2
	s_delay_alu instid0(VALU_DEP_1) | instskip(NEXT) | instid1(VALU_DEP_1)
	v_mul_u64_e32 v[2:3], 24, v[2:3]
	v_add_nc_u64_e32 v[8:9], v[0:1], v[2:3]
	global_store_b64 v[8:9], v[12:13], off
	global_wb scope:SCOPE_SYS
	s_wait_storecnt 0x0
	s_wait_xcnt 0x0
	global_atomic_cmpswap_b64 v[2:3], v53, v[10:13], s[2:3] offset:32 th:TH_ATOMIC_RETURN scope:SCOPE_SYS
	s_wait_loadcnt 0x0
	v_cmpx_ne_u64_e64 v[2:3], v[12:13]
	s_cbranch_execz .LBB3_18
; %bb.16:                               ;   in Loop: Header=BB3_3 Depth=1
	s_mov_b32 s7, 0
.LBB3_17:                               ;   Parent Loop BB3_3 Depth=1
                                        ; =>  This Inner Loop Header: Depth=2
	v_dual_mov_b32 v0, s4 :: v_dual_mov_b32 v1, s5
	s_sleep 1
	global_store_b64 v[8:9], v[2:3], off
	global_wb scope:SCOPE_SYS
	s_wait_storecnt 0x0
	s_wait_xcnt 0x0
	global_atomic_cmpswap_b64 v[0:1], v53, v[0:3], s[2:3] offset:32 th:TH_ATOMIC_RETURN scope:SCOPE_SYS
	s_wait_loadcnt 0x0
	v_cmp_eq_u64_e32 vcc_lo, v[0:1], v[2:3]
	v_mov_b64_e32 v[2:3], v[0:1]
	s_or_b32 s7, vcc_lo, s7
	s_delay_alu instid0(SALU_CYCLE_1)
	s_and_not1_b32 exec_lo, exec_lo, s7
	s_cbranch_execnz .LBB3_17
.LBB3_18:                               ;   in Loop: Header=BB3_3 Depth=1
	s_or_b32 exec_lo, exec_lo, s6
	global_load_b64 v[0:1], v53, s[2:3] offset:16
	s_mov_b32 s7, exec_lo
	s_mov_b32 s6, exec_lo
	v_mbcnt_lo_u32_b32 v2, s7, 0
	s_wait_xcnt 0x0
	s_delay_alu instid0(VALU_DEP_1)
	v_cmpx_eq_u32_e32 0, v2
	s_cbranch_execz .LBB3_20
; %bb.19:                               ;   in Loop: Header=BB3_3 Depth=1
	s_bcnt1_i32_b32 s7, s7
	s_delay_alu instid0(SALU_CYCLE_1)
	v_mov_b32_e32 v52, s7
	global_wb scope:SCOPE_SYS
	s_wait_loadcnt 0x0
	s_wait_storecnt 0x0
	global_atomic_add_u64 v[0:1], v[52:53], off offset:8 scope:SCOPE_SYS
.LBB3_20:                               ;   in Loop: Header=BB3_3 Depth=1
	s_wait_xcnt 0x0
	s_or_b32 exec_lo, exec_lo, s6
	s_wait_loadcnt 0x0
	global_load_b64 v[2:3], v[0:1], off offset:16
	s_wait_loadcnt 0x0
	v_cmp_eq_u64_e32 vcc_lo, 0, v[2:3]
	s_cbranch_vccnz .LBB3_22
; %bb.21:                               ;   in Loop: Header=BB3_3 Depth=1
	global_load_b32 v52, v[0:1], off offset:24
	s_wait_loadcnt 0x0
	v_readfirstlane_b32 s6, v52
	global_wb scope:SCOPE_SYS
	s_wait_storecnt 0x0
	s_wait_xcnt 0x0
	global_store_b64 v[2:3], v[52:53], off scope:SCOPE_SYS
	s_and_b32 m0, s6, 0xffffff
	s_sendmsg sendmsg(MSG_INTERRUPT)
.LBB3_22:                               ;   in Loop: Header=BB3_3 Depth=1
	s_wait_xcnt 0x0
	s_or_b32 exec_lo, exec_lo, s1
	v_mov_b32_e32 v23, v53
	s_delay_alu instid0(VALU_DEP_1)
	v_add_nc_u64_e32 v[0:1], v[6:7], v[22:23]
	s_branch .LBB3_26
.LBB3_23:                               ;   in Loop: Header=BB3_26 Depth=2
	s_wait_xcnt 0x0
	s_or_b32 exec_lo, exec_lo, s1
	s_delay_alu instid0(VALU_DEP_1)
	v_readfirstlane_b32 s1, v2
	s_cmp_eq_u32 s1, 0
	s_cbranch_scc1 .LBB3_25
; %bb.24:                               ;   in Loop: Header=BB3_26 Depth=2
	s_sleep 1
	s_cbranch_execnz .LBB3_26
	s_branch .LBB3_28
.LBB3_25:                               ;   in Loop: Header=BB3_3 Depth=1
	s_branch .LBB3_28
.LBB3_26:                               ;   Parent Loop BB3_3 Depth=1
                                        ; =>  This Inner Loop Header: Depth=2
	v_mov_b32_e32 v2, 1
	s_and_saveexec_b32 s1, s0
	s_cbranch_execz .LBB3_23
; %bb.27:                               ;   in Loop: Header=BB3_26 Depth=2
	global_load_b32 v2, v[4:5], off offset:20 scope:SCOPE_SYS
	s_wait_loadcnt 0x0
	global_inv scope:SCOPE_SYS
	v_and_b32_e32 v2, 1, v2
	s_branch .LBB3_23
.LBB3_28:                               ;   in Loop: Header=BB3_3 Depth=1
	global_load_b64 v[0:1], v[0:1], off
	s_wait_xcnt 0x0
	s_and_saveexec_b32 s6, s0
	s_cbranch_execz .LBB3_32
; %bb.29:                               ;   in Loop: Header=BB3_3 Depth=1
	s_clause 0x2
	global_load_b64 v[2:3], v53, s[2:3] offset:40
	global_load_b64 v[10:11], v53, s[2:3] offset:24 scope:SCOPE_SYS
	global_load_b64 v[4:5], v53, s[2:3]
	s_wait_loadcnt 0x2
	v_readfirstlane_b32 s8, v2
	v_readfirstlane_b32 s9, v3
	s_add_nc_u64 s[0:1], s[8:9], 1
	s_delay_alu instid0(SALU_CYCLE_1) | instskip(NEXT) | instid1(SALU_CYCLE_1)
	s_add_nc_u64 s[4:5], s[0:1], s[4:5]
	s_cmp_eq_u64 s[4:5], 0
	s_cselect_b32 s1, s1, s5
	s_cselect_b32 s0, s0, s4
	s_delay_alu instid0(SALU_CYCLE_1) | instskip(SKIP_1) | instid1(SALU_CYCLE_1)
	v_dual_mov_b32 v9, s1 :: v_dual_mov_b32 v8, s0
	s_and_b64 s[4:5], s[0:1], s[8:9]
	s_mul_u64 s[4:5], s[4:5], 24
	s_wait_loadcnt 0x0
	v_add_nc_u64_e32 v[6:7], s[4:5], v[4:5]
	global_store_b64 v[6:7], v[10:11], off
	global_wb scope:SCOPE_SYS
	s_wait_storecnt 0x0
	s_wait_xcnt 0x0
	global_atomic_cmpswap_b64 v[4:5], v53, v[8:11], s[2:3] offset:24 th:TH_ATOMIC_RETURN scope:SCOPE_SYS
	s_wait_loadcnt 0x0
	v_cmp_ne_u64_e32 vcc_lo, v[4:5], v[10:11]
	s_and_b32 exec_lo, exec_lo, vcc_lo
	s_cbranch_execz .LBB3_32
; %bb.30:                               ;   in Loop: Header=BB3_3 Depth=1
	s_mov_b32 s4, 0
.LBB3_31:                               ;   Parent Loop BB3_3 Depth=1
                                        ; =>  This Inner Loop Header: Depth=2
	v_dual_mov_b32 v2, s0 :: v_dual_mov_b32 v3, s1
	s_sleep 1
	global_store_b64 v[6:7], v[4:5], off
	global_wb scope:SCOPE_SYS
	s_wait_storecnt 0x0
	s_wait_xcnt 0x0
	global_atomic_cmpswap_b64 v[2:3], v53, v[2:5], s[2:3] offset:24 th:TH_ATOMIC_RETURN scope:SCOPE_SYS
	s_wait_loadcnt 0x0
	v_cmp_eq_u64_e32 vcc_lo, v[2:3], v[4:5]
	v_mov_b64_e32 v[4:5], v[2:3]
	s_or_b32 s4, vcc_lo, s4
	s_delay_alu instid0(SALU_CYCLE_1)
	s_and_not1_b32 exec_lo, exec_lo, s4
	s_cbranch_execnz .LBB3_31
.LBB3_32:                               ;   in Loop: Header=BB3_3 Depth=1
	s_or_b32 exec_lo, exec_lo, s6
	s_delay_alu instid0(SALU_CYCLE_1)
	s_and_b32 vcc_lo, exec_lo, s59
	s_cbranch_vccz .LBB3_111
; %bb.33:                               ;   in Loop: Header=BB3_3 Depth=1
	s_wait_loadcnt 0x0
	v_dual_mov_b32 v3, v1 :: v_dual_bitop2_b32 v24, 2, v0 bitop3:0x40
	v_and_b32_e32 v2, -3, v0
	s_mov_b64 s[4:5], 45
	s_mov_b64 s[6:7], s[20:21]
	s_branch .LBB3_35
.LBB3_34:                               ;   in Loop: Header=BB3_35 Depth=2
	s_or_b32 exec_lo, exec_lo, s12
	s_sub_nc_u64 s[4:5], s[4:5], s[8:9]
	s_add_nc_u64 s[6:7], s[6:7], s[8:9]
	s_cmp_lg_u64 s[4:5], 0
	s_cbranch_scc0 .LBB3_110
.LBB3_35:                               ;   Parent Loop BB3_3 Depth=1
                                        ; =>  This Loop Header: Depth=2
                                        ;       Child Loop BB3_38 Depth 3
                                        ;       Child Loop BB3_45 Depth 3
	;; [unrolled: 1-line block ×11, first 2 shown]
	v_min_u64 v[4:5], s[4:5], 56
	v_cmp_gt_u64_e64 s0, s[4:5], 7
	s_and_b32 vcc_lo, exec_lo, s0
	v_readfirstlane_b32 s8, v4
	v_readfirstlane_b32 s9, v5
	s_cbranch_vccnz .LBB3_40
; %bb.36:                               ;   in Loop: Header=BB3_35 Depth=2
	v_mov_b64_e32 v[4:5], 0
	s_cmp_eq_u64 s[4:5], 0
	s_cbranch_scc1 .LBB3_39
; %bb.37:                               ;   in Loop: Header=BB3_35 Depth=2
	s_mov_b64 s[0:1], 0
	s_mov_b64 s[10:11], 0
.LBB3_38:                               ;   Parent Loop BB3_3 Depth=1
                                        ;     Parent Loop BB3_35 Depth=2
                                        ; =>    This Inner Loop Header: Depth=3
	s_wait_xcnt 0x0
	s_add_nc_u64 s[12:13], s[6:7], s[10:11]
	s_add_nc_u64 s[10:11], s[10:11], 1
	global_load_u8 v6, v53, s[12:13]
	s_cmp_lg_u32 s8, s10
	s_wait_loadcnt 0x0
	v_and_b32_e32 v52, 0xffff, v6
	s_delay_alu instid0(VALU_DEP_1) | instskip(SKIP_1) | instid1(VALU_DEP_1)
	v_lshlrev_b64_e32 v[6:7], s0, v[52:53]
	s_add_nc_u64 s[0:1], s[0:1], 8
	v_or_b32_e32 v4, v6, v4
	s_delay_alu instid0(VALU_DEP_2)
	v_or_b32_e32 v5, v7, v5
	s_cbranch_scc1 .LBB3_38
.LBB3_39:                               ;   in Loop: Header=BB3_35 Depth=2
	s_mov_b64 s[0:1], s[6:7]
	s_mov_b32 s17, 0
	s_cbranch_execz .LBB3_41
	s_branch .LBB3_42
.LBB3_40:                               ;   in Loop: Header=BB3_35 Depth=2
	s_add_nc_u64 s[0:1], s[6:7], 8
	s_mov_b32 s17, 0
.LBB3_41:                               ;   in Loop: Header=BB3_35 Depth=2
	global_load_b64 v[4:5], v53, s[6:7]
	s_add_co_i32 s17, s8, -8
.LBB3_42:                               ;   in Loop: Header=BB3_35 Depth=2
	s_delay_alu instid0(SALU_CYCLE_1)
	s_cmp_gt_u32 s17, 7
	s_cbranch_scc1 .LBB3_47
; %bb.43:                               ;   in Loop: Header=BB3_35 Depth=2
	v_mov_b64_e32 v[6:7], 0
	s_cmp_eq_u32 s17, 0
	s_cbranch_scc1 .LBB3_46
; %bb.44:                               ;   in Loop: Header=BB3_35 Depth=2
	s_mov_b64 s[10:11], 0
	s_wait_xcnt 0x0
	s_mov_b64 s[12:13], 0
.LBB3_45:                               ;   Parent Loop BB3_3 Depth=1
                                        ;     Parent Loop BB3_35 Depth=2
                                        ; =>    This Inner Loop Header: Depth=3
	s_wait_xcnt 0x0
	s_add_nc_u64 s[18:19], s[0:1], s[12:13]
	s_add_nc_u64 s[12:13], s[12:13], 1
	global_load_u8 v8, v53, s[18:19]
	s_cmp_lg_u32 s17, s12
	s_wait_loadcnt 0x0
	v_and_b32_e32 v52, 0xffff, v8
	s_delay_alu instid0(VALU_DEP_1) | instskip(SKIP_1) | instid1(VALU_DEP_1)
	v_lshlrev_b64_e32 v[8:9], s10, v[52:53]
	s_add_nc_u64 s[10:11], s[10:11], 8
	v_or_b32_e32 v6, v8, v6
	s_delay_alu instid0(VALU_DEP_2)
	v_or_b32_e32 v7, v9, v7
	s_cbranch_scc1 .LBB3_45
.LBB3_46:                               ;   in Loop: Header=BB3_35 Depth=2
	s_wait_xcnt 0x0
	s_mov_b64 s[10:11], s[0:1]
	s_mov_b32 s18, 0
	s_cbranch_execz .LBB3_48
	s_branch .LBB3_49
.LBB3_47:                               ;   in Loop: Header=BB3_35 Depth=2
	s_add_nc_u64 s[10:11], s[0:1], 8
	s_wait_xcnt 0x0
                                        ; implicit-def: $vgpr6_vgpr7
	s_mov_b32 s18, 0
.LBB3_48:                               ;   in Loop: Header=BB3_35 Depth=2
	global_load_b64 v[6:7], v53, s[0:1]
	s_add_co_i32 s18, s17, -8
.LBB3_49:                               ;   in Loop: Header=BB3_35 Depth=2
	s_delay_alu instid0(SALU_CYCLE_1)
	s_cmp_gt_u32 s18, 7
	s_cbranch_scc1 .LBB3_54
; %bb.50:                               ;   in Loop: Header=BB3_35 Depth=2
	v_mov_b64_e32 v[8:9], 0
	s_cmp_eq_u32 s18, 0
	s_cbranch_scc1 .LBB3_53
; %bb.51:                               ;   in Loop: Header=BB3_35 Depth=2
	s_wait_xcnt 0x0
	s_mov_b64 s[0:1], 0
	s_mov_b64 s[12:13], 0
.LBB3_52:                               ;   Parent Loop BB3_3 Depth=1
                                        ;     Parent Loop BB3_35 Depth=2
                                        ; =>    This Inner Loop Header: Depth=3
	s_wait_xcnt 0x0
	s_add_nc_u64 s[30:31], s[10:11], s[12:13]
	s_add_nc_u64 s[12:13], s[12:13], 1
	global_load_u8 v10, v53, s[30:31]
	s_cmp_lg_u32 s18, s12
	s_wait_loadcnt 0x0
	v_and_b32_e32 v52, 0xffff, v10
	s_delay_alu instid0(VALU_DEP_1) | instskip(SKIP_1) | instid1(VALU_DEP_1)
	v_lshlrev_b64_e32 v[10:11], s0, v[52:53]
	s_add_nc_u64 s[0:1], s[0:1], 8
	v_or_b32_e32 v8, v10, v8
	s_delay_alu instid0(VALU_DEP_2)
	v_or_b32_e32 v9, v11, v9
	s_cbranch_scc1 .LBB3_52
.LBB3_53:                               ;   in Loop: Header=BB3_35 Depth=2
	s_wait_xcnt 0x0
	s_mov_b64 s[0:1], s[10:11]
	s_mov_b32 s17, 0
	s_cbranch_execz .LBB3_55
	s_branch .LBB3_56
.LBB3_54:                               ;   in Loop: Header=BB3_35 Depth=2
	s_wait_xcnt 0x0
	s_add_nc_u64 s[0:1], s[10:11], 8
	s_mov_b32 s17, 0
.LBB3_55:                               ;   in Loop: Header=BB3_35 Depth=2
	global_load_b64 v[8:9], v53, s[10:11]
	s_add_co_i32 s17, s18, -8
.LBB3_56:                               ;   in Loop: Header=BB3_35 Depth=2
	s_delay_alu instid0(SALU_CYCLE_1)
	s_cmp_gt_u32 s17, 7
	s_cbranch_scc1 .LBB3_61
; %bb.57:                               ;   in Loop: Header=BB3_35 Depth=2
	v_mov_b64_e32 v[10:11], 0
	s_cmp_eq_u32 s17, 0
	s_cbranch_scc1 .LBB3_60
; %bb.58:                               ;   in Loop: Header=BB3_35 Depth=2
	s_wait_xcnt 0x0
	s_mov_b64 s[10:11], 0
	s_mov_b64 s[12:13], 0
.LBB3_59:                               ;   Parent Loop BB3_3 Depth=1
                                        ;     Parent Loop BB3_35 Depth=2
                                        ; =>    This Inner Loop Header: Depth=3
	s_wait_xcnt 0x0
	s_add_nc_u64 s[18:19], s[0:1], s[12:13]
	s_add_nc_u64 s[12:13], s[12:13], 1
	global_load_u8 v12, v53, s[18:19]
	s_cmp_lg_u32 s17, s12
	s_wait_loadcnt 0x0
	v_and_b32_e32 v52, 0xffff, v12
	s_delay_alu instid0(VALU_DEP_1) | instskip(SKIP_1) | instid1(VALU_DEP_1)
	v_lshlrev_b64_e32 v[12:13], s10, v[52:53]
	s_add_nc_u64 s[10:11], s[10:11], 8
	v_or_b32_e32 v10, v12, v10
	s_delay_alu instid0(VALU_DEP_2)
	v_or_b32_e32 v11, v13, v11
	s_cbranch_scc1 .LBB3_59
.LBB3_60:                               ;   in Loop: Header=BB3_35 Depth=2
	s_wait_xcnt 0x0
	s_mov_b64 s[10:11], s[0:1]
	s_mov_b32 s18, 0
	s_cbranch_execz .LBB3_62
	s_branch .LBB3_63
.LBB3_61:                               ;   in Loop: Header=BB3_35 Depth=2
	s_wait_xcnt 0x0
	s_add_nc_u64 s[10:11], s[0:1], 8
                                        ; implicit-def: $vgpr10_vgpr11
	s_mov_b32 s18, 0
.LBB3_62:                               ;   in Loop: Header=BB3_35 Depth=2
	global_load_b64 v[10:11], v53, s[0:1]
	s_add_co_i32 s18, s17, -8
.LBB3_63:                               ;   in Loop: Header=BB3_35 Depth=2
	s_delay_alu instid0(SALU_CYCLE_1)
	s_cmp_gt_u32 s18, 7
	s_cbranch_scc1 .LBB3_68
; %bb.64:                               ;   in Loop: Header=BB3_35 Depth=2
	v_mov_b64_e32 v[12:13], 0
	s_cmp_eq_u32 s18, 0
	s_cbranch_scc1 .LBB3_67
; %bb.65:                               ;   in Loop: Header=BB3_35 Depth=2
	s_wait_xcnt 0x0
	s_mov_b64 s[0:1], 0
	s_mov_b64 s[12:13], 0
.LBB3_66:                               ;   Parent Loop BB3_3 Depth=1
                                        ;     Parent Loop BB3_35 Depth=2
                                        ; =>    This Inner Loop Header: Depth=3
	s_wait_xcnt 0x0
	s_add_nc_u64 s[30:31], s[10:11], s[12:13]
	s_add_nc_u64 s[12:13], s[12:13], 1
	global_load_u8 v14, v53, s[30:31]
	s_cmp_lg_u32 s18, s12
	s_wait_loadcnt 0x0
	v_and_b32_e32 v52, 0xffff, v14
	s_delay_alu instid0(VALU_DEP_1) | instskip(SKIP_1) | instid1(VALU_DEP_1)
	v_lshlrev_b64_e32 v[14:15], s0, v[52:53]
	s_add_nc_u64 s[0:1], s[0:1], 8
	v_or_b32_e32 v12, v14, v12
	s_delay_alu instid0(VALU_DEP_2)
	v_or_b32_e32 v13, v15, v13
	s_cbranch_scc1 .LBB3_66
.LBB3_67:                               ;   in Loop: Header=BB3_35 Depth=2
	s_wait_xcnt 0x0
	s_mov_b64 s[0:1], s[10:11]
	s_mov_b32 s17, 0
	s_cbranch_execz .LBB3_69
	s_branch .LBB3_70
.LBB3_68:                               ;   in Loop: Header=BB3_35 Depth=2
	s_wait_xcnt 0x0
	s_add_nc_u64 s[0:1], s[10:11], 8
	s_mov_b32 s17, 0
.LBB3_69:                               ;   in Loop: Header=BB3_35 Depth=2
	global_load_b64 v[12:13], v53, s[10:11]
	s_add_co_i32 s17, s18, -8
.LBB3_70:                               ;   in Loop: Header=BB3_35 Depth=2
	s_delay_alu instid0(SALU_CYCLE_1)
	s_cmp_gt_u32 s17, 7
	s_cbranch_scc1 .LBB3_75
; %bb.71:                               ;   in Loop: Header=BB3_35 Depth=2
	v_mov_b64_e32 v[14:15], 0
	s_cmp_eq_u32 s17, 0
	s_cbranch_scc1 .LBB3_74
; %bb.72:                               ;   in Loop: Header=BB3_35 Depth=2
	s_wait_xcnt 0x0
	s_mov_b64 s[10:11], 0
	s_mov_b64 s[12:13], 0
.LBB3_73:                               ;   Parent Loop BB3_3 Depth=1
                                        ;     Parent Loop BB3_35 Depth=2
                                        ; =>    This Inner Loop Header: Depth=3
	s_wait_xcnt 0x0
	s_add_nc_u64 s[18:19], s[0:1], s[12:13]
	s_add_nc_u64 s[12:13], s[12:13], 1
	global_load_u8 v16, v53, s[18:19]
	s_cmp_lg_u32 s17, s12
	s_wait_loadcnt 0x0
	v_and_b32_e32 v52, 0xffff, v16
	s_delay_alu instid0(VALU_DEP_1) | instskip(SKIP_1) | instid1(VALU_DEP_1)
	v_lshlrev_b64_e32 v[16:17], s10, v[52:53]
	s_add_nc_u64 s[10:11], s[10:11], 8
	v_or_b32_e32 v14, v16, v14
	s_delay_alu instid0(VALU_DEP_2)
	v_or_b32_e32 v15, v17, v15
	s_cbranch_scc1 .LBB3_73
.LBB3_74:                               ;   in Loop: Header=BB3_35 Depth=2
	s_wait_xcnt 0x0
	s_mov_b64 s[10:11], s[0:1]
	s_mov_b32 s18, 0
	s_cbranch_execz .LBB3_76
	s_branch .LBB3_77
.LBB3_75:                               ;   in Loop: Header=BB3_35 Depth=2
	s_wait_xcnt 0x0
	s_add_nc_u64 s[10:11], s[0:1], 8
                                        ; implicit-def: $vgpr14_vgpr15
	s_mov_b32 s18, 0
.LBB3_76:                               ;   in Loop: Header=BB3_35 Depth=2
	global_load_b64 v[14:15], v53, s[0:1]
	s_add_co_i32 s18, s17, -8
.LBB3_77:                               ;   in Loop: Header=BB3_35 Depth=2
	s_delay_alu instid0(SALU_CYCLE_1)
	s_cmp_gt_u32 s18, 7
	s_cbranch_scc1 .LBB3_82
; %bb.78:                               ;   in Loop: Header=BB3_35 Depth=2
	v_mov_b64_e32 v[16:17], 0
	s_cmp_eq_u32 s18, 0
	s_cbranch_scc1 .LBB3_81
; %bb.79:                               ;   in Loop: Header=BB3_35 Depth=2
	s_wait_xcnt 0x0
	s_mov_b64 s[0:1], 0
	s_mov_b64 s[12:13], s[10:11]
.LBB3_80:                               ;   Parent Loop BB3_3 Depth=1
                                        ;     Parent Loop BB3_35 Depth=2
                                        ; =>    This Inner Loop Header: Depth=3
	global_load_u8 v18, v53, s[12:13]
	s_add_co_i32 s18, s18, -1
	s_wait_xcnt 0x0
	s_add_nc_u64 s[12:13], s[12:13], 1
	s_cmp_lg_u32 s18, 0
	s_wait_loadcnt 0x0
	v_and_b32_e32 v52, 0xffff, v18
	s_delay_alu instid0(VALU_DEP_1) | instskip(SKIP_1) | instid1(VALU_DEP_1)
	v_lshlrev_b64_e32 v[18:19], s0, v[52:53]
	s_add_nc_u64 s[0:1], s[0:1], 8
	v_or_b32_e32 v16, v18, v16
	s_delay_alu instid0(VALU_DEP_2)
	v_or_b32_e32 v17, v19, v17
	s_cbranch_scc1 .LBB3_80
.LBB3_81:                               ;   in Loop: Header=BB3_35 Depth=2
	s_wait_xcnt 0x0
	s_cbranch_execz .LBB3_83
	s_branch .LBB3_84
.LBB3_82:                               ;   in Loop: Header=BB3_35 Depth=2
	s_wait_xcnt 0x0
.LBB3_83:                               ;   in Loop: Header=BB3_35 Depth=2
	global_load_b64 v[16:17], v53, s[10:11]
.LBB3_84:                               ;   in Loop: Header=BB3_35 Depth=2
	v_readfirstlane_b32 s0, v80
	v_mov_b64_e32 v[26:27], 0
	s_delay_alu instid0(VALU_DEP_2)
	v_cmp_eq_u32_e64 s0, s0, v80
	s_wait_xcnt 0x0
	s_and_saveexec_b32 s1, s0
	s_cbranch_execz .LBB3_90
; %bb.85:                               ;   in Loop: Header=BB3_35 Depth=2
	global_load_b64 v[20:21], v53, s[2:3] offset:24 scope:SCOPE_SYS
	s_wait_loadcnt 0x0
	global_inv scope:SCOPE_SYS
	s_clause 0x1
	global_load_b64 v[18:19], v53, s[2:3] offset:40
	global_load_b64 v[26:27], v53, s[2:3]
	s_mov_b32 s10, exec_lo
	s_wait_loadcnt 0x1
	v_and_b32_e32 v18, v18, v20
	v_and_b32_e32 v19, v19, v21
	s_delay_alu instid0(VALU_DEP_1) | instskip(SKIP_1) | instid1(VALU_DEP_1)
	v_mul_u64_e32 v[18:19], 24, v[18:19]
	s_wait_loadcnt 0x0
	v_add_nc_u64_e32 v[18:19], v[26:27], v[18:19]
	global_load_b64 v[18:19], v[18:19], off scope:SCOPE_SYS
	s_wait_xcnt 0x0
	s_wait_loadcnt 0x0
	global_atomic_cmpswap_b64 v[26:27], v53, v[18:21], s[2:3] offset:24 th:TH_ATOMIC_RETURN scope:SCOPE_SYS
	s_wait_loadcnt 0x0
	global_inv scope:SCOPE_SYS
	s_wait_xcnt 0x0
	v_cmpx_ne_u64_e64 v[26:27], v[20:21]
	s_cbranch_execz .LBB3_89
; %bb.86:                               ;   in Loop: Header=BB3_35 Depth=2
	s_mov_b32 s11, 0
.LBB3_87:                               ;   Parent Loop BB3_3 Depth=1
                                        ;     Parent Loop BB3_35 Depth=2
                                        ; =>    This Inner Loop Header: Depth=3
	s_sleep 1
	s_clause 0x1
	global_load_b64 v[18:19], v53, s[2:3] offset:40
	global_load_b64 v[28:29], v53, s[2:3]
	v_mov_b64_e32 v[20:21], v[26:27]
	s_wait_loadcnt 0x1
	s_delay_alu instid0(VALU_DEP_1) | instskip(SKIP_1) | instid1(VALU_DEP_1)
	v_and_b32_e32 v18, v18, v20
	s_wait_loadcnt 0x0
	v_mad_nc_u64_u32 v[26:27], v18, 24, v[28:29]
	s_delay_alu instid0(VALU_DEP_3) | instskip(NEXT) | instid1(VALU_DEP_1)
	v_and_b32_e32 v18, v19, v21
	v_mad_u32 v27, v18, 24, v27
	global_load_b64 v[18:19], v[26:27], off scope:SCOPE_SYS
	s_wait_xcnt 0x0
	s_wait_loadcnt 0x0
	global_atomic_cmpswap_b64 v[26:27], v53, v[18:21], s[2:3] offset:24 th:TH_ATOMIC_RETURN scope:SCOPE_SYS
	s_wait_loadcnt 0x0
	global_inv scope:SCOPE_SYS
	v_cmp_eq_u64_e32 vcc_lo, v[26:27], v[20:21]
	s_or_b32 s11, vcc_lo, s11
	s_wait_xcnt 0x0
	s_and_not1_b32 exec_lo, exec_lo, s11
	s_cbranch_execnz .LBB3_87
; %bb.88:                               ;   in Loop: Header=BB3_35 Depth=2
	s_or_b32 exec_lo, exec_lo, s11
.LBB3_89:                               ;   in Loop: Header=BB3_35 Depth=2
	s_delay_alu instid0(SALU_CYCLE_1)
	s_or_b32 exec_lo, exec_lo, s10
.LBB3_90:                               ;   in Loop: Header=BB3_35 Depth=2
	s_delay_alu instid0(SALU_CYCLE_1)
	s_or_b32 exec_lo, exec_lo, s1
	s_clause 0x1
	global_load_b64 v[28:29], v53, s[2:3] offset:40
	global_load_b128 v[18:21], v53, s[2:3]
	v_readfirstlane_b32 s10, v26
	v_readfirstlane_b32 s11, v27
	s_mov_b32 s1, exec_lo
	s_wait_loadcnt 0x1
	v_and_b32_e32 v28, s10, v28
	v_and_b32_e32 v29, s11, v29
	s_delay_alu instid0(VALU_DEP_1) | instskip(SKIP_1) | instid1(VALU_DEP_1)
	v_mul_u64_e32 v[26:27], 24, v[28:29]
	s_wait_loadcnt 0x0
	v_add_nc_u64_e32 v[26:27], v[18:19], v[26:27]
	s_wait_xcnt 0x0
	s_and_saveexec_b32 s12, s0
	s_cbranch_execz .LBB3_92
; %bb.91:                               ;   in Loop: Header=BB3_35 Depth=2
	v_mov_b32_e32 v52, s1
	global_store_b128 v[26:27], v[52:55], off offset:8
.LBB3_92:                               ;   in Loop: Header=BB3_35 Depth=2
	s_wait_xcnt 0x0
	s_or_b32 exec_lo, exec_lo, s12
	v_cmp_lt_u64_e64 vcc_lo, s[4:5], 57
	v_lshlrev_b64_e32 v[28:29], 12, v[28:29]
	v_and_b32_e32 v2, 0xffffff1f, v2
	s_lshl_b32 s1, s8, 2
	s_delay_alu instid0(SALU_CYCLE_1) | instskip(SKIP_1) | instid1(VALU_DEP_3)
	s_add_co_i32 s1, s1, 28
	v_cndmask_b32_e32 v23, 0, v24, vcc_lo
	v_add_nc_u64_e32 v[20:21], v[20:21], v[28:29]
	s_delay_alu instid0(VALU_DEP_2) | instskip(NEXT) | instid1(VALU_DEP_2)
	v_or_b32_e32 v2, v2, v23
	v_readfirstlane_b32 s12, v20
	s_delay_alu instid0(VALU_DEP_3) | instskip(NEXT) | instid1(VALU_DEP_3)
	v_readfirstlane_b32 s13, v21
	v_and_or_b32 v2, 0x1e0, s1, v2
	s_clause 0x3
	global_store_b128 v22, v[2:5], s[12:13]
	global_store_b128 v22, v[6:9], s[12:13] offset:16
	global_store_b128 v22, v[10:13], s[12:13] offset:32
	;; [unrolled: 1-line block ×3, first 2 shown]
	s_wait_xcnt 0x0
	s_and_saveexec_b32 s1, s0
	s_cbranch_execz .LBB3_100
; %bb.93:                               ;   in Loop: Header=BB3_35 Depth=2
	s_clause 0x1
	global_load_b64 v[10:11], v53, s[2:3] offset:32 scope:SCOPE_SYS
	global_load_b64 v[2:3], v53, s[2:3] offset:40
	s_mov_b32 s12, exec_lo
	v_dual_mov_b32 v8, s10 :: v_dual_mov_b32 v9, s11
	s_wait_loadcnt 0x0
	v_and_b32_e32 v3, s11, v3
	v_and_b32_e32 v2, s10, v2
	s_delay_alu instid0(VALU_DEP_1) | instskip(NEXT) | instid1(VALU_DEP_1)
	v_mul_u64_e32 v[2:3], 24, v[2:3]
	v_add_nc_u64_e32 v[6:7], v[18:19], v[2:3]
	global_store_b64 v[6:7], v[10:11], off
	global_wb scope:SCOPE_SYS
	s_wait_storecnt 0x0
	s_wait_xcnt 0x0
	global_atomic_cmpswap_b64 v[4:5], v53, v[8:11], s[2:3] offset:32 th:TH_ATOMIC_RETURN scope:SCOPE_SYS
	s_wait_loadcnt 0x0
	v_cmpx_ne_u64_e64 v[4:5], v[10:11]
	s_cbranch_execz .LBB3_96
; %bb.94:                               ;   in Loop: Header=BB3_35 Depth=2
	s_mov_b32 s13, 0
.LBB3_95:                               ;   Parent Loop BB3_3 Depth=1
                                        ;     Parent Loop BB3_35 Depth=2
                                        ; =>    This Inner Loop Header: Depth=3
	v_dual_mov_b32 v2, s10 :: v_dual_mov_b32 v3, s11
	s_sleep 1
	global_store_b64 v[6:7], v[4:5], off
	global_wb scope:SCOPE_SYS
	s_wait_storecnt 0x0
	s_wait_xcnt 0x0
	global_atomic_cmpswap_b64 v[2:3], v53, v[2:5], s[2:3] offset:32 th:TH_ATOMIC_RETURN scope:SCOPE_SYS
	s_wait_loadcnt 0x0
	v_cmp_eq_u64_e32 vcc_lo, v[2:3], v[4:5]
	v_mov_b64_e32 v[4:5], v[2:3]
	s_or_b32 s13, vcc_lo, s13
	s_delay_alu instid0(SALU_CYCLE_1)
	s_and_not1_b32 exec_lo, exec_lo, s13
	s_cbranch_execnz .LBB3_95
.LBB3_96:                               ;   in Loop: Header=BB3_35 Depth=2
	s_or_b32 exec_lo, exec_lo, s12
	global_load_b64 v[2:3], v53, s[2:3] offset:16
	s_mov_b32 s13, exec_lo
	s_mov_b32 s12, exec_lo
	v_mbcnt_lo_u32_b32 v4, s13, 0
	s_wait_xcnt 0x0
	s_delay_alu instid0(VALU_DEP_1)
	v_cmpx_eq_u32_e32 0, v4
	s_cbranch_execz .LBB3_98
; %bb.97:                               ;   in Loop: Header=BB3_35 Depth=2
	s_bcnt1_i32_b32 s13, s13
	s_delay_alu instid0(SALU_CYCLE_1)
	v_mov_b32_e32 v52, s13
	global_wb scope:SCOPE_SYS
	s_wait_loadcnt 0x0
	s_wait_storecnt 0x0
	global_atomic_add_u64 v[2:3], v[52:53], off offset:8 scope:SCOPE_SYS
.LBB3_98:                               ;   in Loop: Header=BB3_35 Depth=2
	s_wait_xcnt 0x0
	s_or_b32 exec_lo, exec_lo, s12
	s_wait_loadcnt 0x0
	global_load_b64 v[4:5], v[2:3], off offset:16
	s_wait_loadcnt 0x0
	v_cmp_eq_u64_e32 vcc_lo, 0, v[4:5]
	s_cbranch_vccnz .LBB3_100
; %bb.99:                               ;   in Loop: Header=BB3_35 Depth=2
	global_load_b32 v52, v[2:3], off offset:24
	s_wait_loadcnt 0x0
	v_readfirstlane_b32 s12, v52
	global_wb scope:SCOPE_SYS
	s_wait_storecnt 0x0
	s_wait_xcnt 0x0
	global_store_b64 v[4:5], v[52:53], off scope:SCOPE_SYS
	s_and_b32 m0, s12, 0xffffff
	s_sendmsg sendmsg(MSG_INTERRUPT)
.LBB3_100:                              ;   in Loop: Header=BB3_35 Depth=2
	s_wait_xcnt 0x0
	s_or_b32 exec_lo, exec_lo, s1
	v_mov_b32_e32 v23, v53
	s_delay_alu instid0(VALU_DEP_1)
	v_add_nc_u64_e32 v[2:3], v[20:21], v[22:23]
	s_branch .LBB3_104
.LBB3_101:                              ;   in Loop: Header=BB3_104 Depth=3
	s_wait_xcnt 0x0
	s_or_b32 exec_lo, exec_lo, s1
	s_delay_alu instid0(VALU_DEP_1)
	v_readfirstlane_b32 s1, v4
	s_cmp_eq_u32 s1, 0
	s_cbranch_scc1 .LBB3_103
; %bb.102:                              ;   in Loop: Header=BB3_104 Depth=3
	s_sleep 1
	s_cbranch_execnz .LBB3_104
	s_branch .LBB3_106
.LBB3_103:                              ;   in Loop: Header=BB3_35 Depth=2
	s_branch .LBB3_106
.LBB3_104:                              ;   Parent Loop BB3_3 Depth=1
                                        ;     Parent Loop BB3_35 Depth=2
                                        ; =>    This Inner Loop Header: Depth=3
	v_mov_b32_e32 v4, 1
	s_and_saveexec_b32 s1, s0
	s_cbranch_execz .LBB3_101
; %bb.105:                              ;   in Loop: Header=BB3_104 Depth=3
	global_load_b32 v4, v[26:27], off offset:20 scope:SCOPE_SYS
	s_wait_loadcnt 0x0
	global_inv scope:SCOPE_SYS
	v_and_b32_e32 v4, 1, v4
	s_branch .LBB3_101
.LBB3_106:                              ;   in Loop: Header=BB3_35 Depth=2
	global_load_b64 v[2:3], v[2:3], off
	s_wait_xcnt 0x0
	s_and_saveexec_b32 s12, s0
	s_cbranch_execz .LBB3_34
; %bb.107:                              ;   in Loop: Header=BB3_35 Depth=2
	s_clause 0x2
	global_load_b64 v[4:5], v53, s[2:3] offset:40
	global_load_b64 v[12:13], v53, s[2:3] offset:24 scope:SCOPE_SYS
	global_load_b64 v[6:7], v53, s[2:3]
	s_wait_loadcnt 0x2
	v_readfirstlane_b32 s18, v4
	v_readfirstlane_b32 s19, v5
	s_add_nc_u64 s[0:1], s[18:19], 1
	s_delay_alu instid0(SALU_CYCLE_1) | instskip(NEXT) | instid1(SALU_CYCLE_1)
	s_add_nc_u64 s[10:11], s[0:1], s[10:11]
	s_cmp_eq_u64 s[10:11], 0
	s_cselect_b32 s1, s1, s11
	s_cselect_b32 s0, s0, s10
	s_delay_alu instid0(SALU_CYCLE_1) | instskip(SKIP_1) | instid1(SALU_CYCLE_1)
	v_dual_mov_b32 v11, s1 :: v_dual_mov_b32 v10, s0
	s_and_b64 s[10:11], s[0:1], s[18:19]
	s_mul_u64 s[10:11], s[10:11], 24
	s_wait_loadcnt 0x0
	v_add_nc_u64_e32 v[8:9], s[10:11], v[6:7]
	global_store_b64 v[8:9], v[12:13], off
	global_wb scope:SCOPE_SYS
	s_wait_storecnt 0x0
	s_wait_xcnt 0x0
	global_atomic_cmpswap_b64 v[6:7], v53, v[10:13], s[2:3] offset:24 th:TH_ATOMIC_RETURN scope:SCOPE_SYS
	s_wait_loadcnt 0x0
	v_cmp_ne_u64_e32 vcc_lo, v[6:7], v[12:13]
	s_and_b32 exec_lo, exec_lo, vcc_lo
	s_cbranch_execz .LBB3_34
; %bb.108:                              ;   in Loop: Header=BB3_35 Depth=2
	s_mov_b32 s10, 0
.LBB3_109:                              ;   Parent Loop BB3_3 Depth=1
                                        ;     Parent Loop BB3_35 Depth=2
                                        ; =>    This Inner Loop Header: Depth=3
	v_dual_mov_b32 v4, s0 :: v_dual_mov_b32 v5, s1
	s_sleep 1
	global_store_b64 v[8:9], v[6:7], off
	global_wb scope:SCOPE_SYS
	s_wait_storecnt 0x0
	s_wait_xcnt 0x0
	global_atomic_cmpswap_b64 v[4:5], v53, v[4:7], s[2:3] offset:24 th:TH_ATOMIC_RETURN scope:SCOPE_SYS
	s_wait_loadcnt 0x0
	v_cmp_eq_u64_e32 vcc_lo, v[4:5], v[6:7]
	v_mov_b64_e32 v[6:7], v[4:5]
	s_or_b32 s10, vcc_lo, s10
	s_delay_alu instid0(SALU_CYCLE_1)
	s_and_not1_b32 exec_lo, exec_lo, s10
	s_cbranch_execnz .LBB3_109
	s_branch .LBB3_34
.LBB3_110:                              ;   in Loop: Header=BB3_3 Depth=1
	s_branch .LBB3_139
.LBB3_111:                              ;   in Loop: Header=BB3_3 Depth=1
                                        ; implicit-def: $vgpr2_vgpr3
	s_cbranch_execz .LBB3_139
; %bb.112:                              ;   in Loop: Header=BB3_3 Depth=1
	v_readfirstlane_b32 s0, v80
	s_wait_loadcnt 0x0
	v_mov_b64_e32 v[2:3], 0
	s_delay_alu instid0(VALU_DEP_2)
	v_cmp_eq_u32_e64 s0, s0, v80
	s_and_saveexec_b32 s1, s0
	s_cbranch_execz .LBB3_118
; %bb.113:                              ;   in Loop: Header=BB3_3 Depth=1
	global_load_b64 v[4:5], v53, s[2:3] offset:24 scope:SCOPE_SYS
	s_wait_loadcnt 0x0
	global_inv scope:SCOPE_SYS
	s_clause 0x1
	global_load_b64 v[2:3], v53, s[2:3] offset:40
	global_load_b64 v[6:7], v53, s[2:3]
	s_mov_b32 s4, exec_lo
	s_wait_loadcnt 0x1
	v_and_b32_e32 v2, v2, v4
	v_and_b32_e32 v3, v3, v5
	s_delay_alu instid0(VALU_DEP_1) | instskip(SKIP_1) | instid1(VALU_DEP_1)
	v_mul_u64_e32 v[2:3], 24, v[2:3]
	s_wait_loadcnt 0x0
	v_add_nc_u64_e32 v[2:3], v[6:7], v[2:3]
	global_load_b64 v[2:3], v[2:3], off scope:SCOPE_SYS
	s_wait_xcnt 0x0
	s_wait_loadcnt 0x0
	global_atomic_cmpswap_b64 v[2:3], v53, v[2:5], s[2:3] offset:24 th:TH_ATOMIC_RETURN scope:SCOPE_SYS
	s_wait_loadcnt 0x0
	global_inv scope:SCOPE_SYS
	s_wait_xcnt 0x0
	v_cmpx_ne_u64_e64 v[2:3], v[4:5]
	s_cbranch_execz .LBB3_117
; %bb.114:                              ;   in Loop: Header=BB3_3 Depth=1
	s_mov_b32 s5, 0
.LBB3_115:                              ;   Parent Loop BB3_3 Depth=1
                                        ; =>  This Inner Loop Header: Depth=2
	s_sleep 1
	s_clause 0x1
	global_load_b64 v[6:7], v53, s[2:3] offset:40
	global_load_b64 v[8:9], v53, s[2:3]
	v_mov_b64_e32 v[4:5], v[2:3]
	s_wait_loadcnt 0x1
	s_delay_alu instid0(VALU_DEP_1) | instskip(NEXT) | instid1(VALU_DEP_2)
	v_and_b32_e32 v2, v6, v4
	v_and_b32_e32 v6, v7, v5
	s_wait_loadcnt 0x0
	s_delay_alu instid0(VALU_DEP_2) | instskip(NEXT) | instid1(VALU_DEP_1)
	v_mad_nc_u64_u32 v[2:3], v2, 24, v[8:9]
	v_mad_u32 v3, v6, 24, v3
	global_load_b64 v[2:3], v[2:3], off scope:SCOPE_SYS
	s_wait_xcnt 0x0
	s_wait_loadcnt 0x0
	global_atomic_cmpswap_b64 v[2:3], v53, v[2:5], s[2:3] offset:24 th:TH_ATOMIC_RETURN scope:SCOPE_SYS
	s_wait_loadcnt 0x0
	global_inv scope:SCOPE_SYS
	v_cmp_eq_u64_e32 vcc_lo, v[2:3], v[4:5]
	s_or_b32 s5, vcc_lo, s5
	s_wait_xcnt 0x0
	s_and_not1_b32 exec_lo, exec_lo, s5
	s_cbranch_execnz .LBB3_115
; %bb.116:                              ;   in Loop: Header=BB3_3 Depth=1
	s_or_b32 exec_lo, exec_lo, s5
.LBB3_117:                              ;   in Loop: Header=BB3_3 Depth=1
	s_delay_alu instid0(SALU_CYCLE_1)
	s_or_b32 exec_lo, exec_lo, s4
.LBB3_118:                              ;   in Loop: Header=BB3_3 Depth=1
	s_delay_alu instid0(SALU_CYCLE_1)
	s_or_b32 exec_lo, exec_lo, s1
	s_clause 0x1
	global_load_b64 v[8:9], v53, s[2:3] offset:40
	global_load_b128 v[4:7], v53, s[2:3]
	v_readfirstlane_b32 s4, v2
	v_readfirstlane_b32 s5, v3
	s_mov_b32 s1, exec_lo
	s_wait_loadcnt 0x1
	v_and_b32_e32 v2, s4, v8
	v_and_b32_e32 v3, s5, v9
	s_delay_alu instid0(VALU_DEP_1) | instskip(SKIP_1) | instid1(VALU_DEP_1)
	v_mul_u64_e32 v[8:9], 24, v[2:3]
	s_wait_loadcnt 0x0
	v_add_nc_u64_e32 v[8:9], v[4:5], v[8:9]
	s_wait_xcnt 0x0
	s_and_saveexec_b32 s6, s0
	s_cbranch_execz .LBB3_120
; %bb.119:                              ;   in Loop: Header=BB3_3 Depth=1
	v_mov_b32_e32 v52, s1
	global_store_b128 v[8:9], v[52:55], off offset:8
.LBB3_120:                              ;   in Loop: Header=BB3_3 Depth=1
	s_wait_xcnt 0x0
	s_or_b32 exec_lo, exec_lo, s6
	v_lshlrev_b64_e32 v[2:3], 12, v[2:3]
	s_mov_b32 s17, s16
	s_mov_b32 s18, s16
	;; [unrolled: 1-line block ×3, first 2 shown]
	v_mov_b64_e32 v[10:11], s[16:17]
	v_mov_b64_e32 v[12:13], s[18:19]
	v_and_or_b32 v0, 0xffffff1f, v0, 32
	v_add_nc_u64_e32 v[6:7], v[6:7], v[2:3]
	v_dual_mov_b32 v2, v53 :: v_dual_mov_b32 v3, v53
	s_delay_alu instid0(VALU_DEP_2) | instskip(NEXT) | instid1(VALU_DEP_3)
	v_readfirstlane_b32 s6, v6
	v_readfirstlane_b32 s7, v7
	s_clause 0x3
	global_store_b128 v22, v[0:3], s[6:7]
	global_store_b128 v22, v[10:13], s[6:7] offset:16
	global_store_b128 v22, v[10:13], s[6:7] offset:32
	;; [unrolled: 1-line block ×3, first 2 shown]
	s_wait_xcnt 0x0
	s_and_saveexec_b32 s1, s0
	s_cbranch_execz .LBB3_128
; %bb.121:                              ;   in Loop: Header=BB3_3 Depth=1
	s_clause 0x1
	global_load_b64 v[12:13], v53, s[2:3] offset:32 scope:SCOPE_SYS
	global_load_b64 v[0:1], v53, s[2:3] offset:40
	s_mov_b32 s6, exec_lo
	v_dual_mov_b32 v10, s4 :: v_dual_mov_b32 v11, s5
	s_wait_loadcnt 0x0
	v_and_b32_e32 v1, s5, v1
	v_and_b32_e32 v0, s4, v0
	s_delay_alu instid0(VALU_DEP_1) | instskip(NEXT) | instid1(VALU_DEP_1)
	v_mul_u64_e32 v[0:1], 24, v[0:1]
	v_add_nc_u64_e32 v[4:5], v[4:5], v[0:1]
	global_store_b64 v[4:5], v[12:13], off
	global_wb scope:SCOPE_SYS
	s_wait_storecnt 0x0
	s_wait_xcnt 0x0
	global_atomic_cmpswap_b64 v[2:3], v53, v[10:13], s[2:3] offset:32 th:TH_ATOMIC_RETURN scope:SCOPE_SYS
	s_wait_loadcnt 0x0
	v_cmpx_ne_u64_e64 v[2:3], v[12:13]
	s_cbranch_execz .LBB3_124
; %bb.122:                              ;   in Loop: Header=BB3_3 Depth=1
	s_mov_b32 s7, 0
.LBB3_123:                              ;   Parent Loop BB3_3 Depth=1
                                        ; =>  This Inner Loop Header: Depth=2
	v_dual_mov_b32 v0, s4 :: v_dual_mov_b32 v1, s5
	s_sleep 1
	global_store_b64 v[4:5], v[2:3], off
	global_wb scope:SCOPE_SYS
	s_wait_storecnt 0x0
	s_wait_xcnt 0x0
	global_atomic_cmpswap_b64 v[0:1], v53, v[0:3], s[2:3] offset:32 th:TH_ATOMIC_RETURN scope:SCOPE_SYS
	s_wait_loadcnt 0x0
	v_cmp_eq_u64_e32 vcc_lo, v[0:1], v[2:3]
	v_mov_b64_e32 v[2:3], v[0:1]
	s_or_b32 s7, vcc_lo, s7
	s_delay_alu instid0(SALU_CYCLE_1)
	s_and_not1_b32 exec_lo, exec_lo, s7
	s_cbranch_execnz .LBB3_123
.LBB3_124:                              ;   in Loop: Header=BB3_3 Depth=1
	s_or_b32 exec_lo, exec_lo, s6
	global_load_b64 v[0:1], v53, s[2:3] offset:16
	s_mov_b32 s7, exec_lo
	s_mov_b32 s6, exec_lo
	v_mbcnt_lo_u32_b32 v2, s7, 0
	s_wait_xcnt 0x0
	s_delay_alu instid0(VALU_DEP_1)
	v_cmpx_eq_u32_e32 0, v2
	s_cbranch_execz .LBB3_126
; %bb.125:                              ;   in Loop: Header=BB3_3 Depth=1
	s_bcnt1_i32_b32 s7, s7
	s_delay_alu instid0(SALU_CYCLE_1)
	v_mov_b32_e32 v52, s7
	global_wb scope:SCOPE_SYS
	s_wait_loadcnt 0x0
	s_wait_storecnt 0x0
	global_atomic_add_u64 v[0:1], v[52:53], off offset:8 scope:SCOPE_SYS
.LBB3_126:                              ;   in Loop: Header=BB3_3 Depth=1
	s_wait_xcnt 0x0
	s_or_b32 exec_lo, exec_lo, s6
	s_wait_loadcnt 0x0
	global_load_b64 v[2:3], v[0:1], off offset:16
	s_wait_loadcnt 0x0
	v_cmp_eq_u64_e32 vcc_lo, 0, v[2:3]
	s_cbranch_vccnz .LBB3_128
; %bb.127:                              ;   in Loop: Header=BB3_3 Depth=1
	global_load_b32 v52, v[0:1], off offset:24
	s_wait_loadcnt 0x0
	v_readfirstlane_b32 s6, v52
	global_wb scope:SCOPE_SYS
	s_wait_storecnt 0x0
	s_wait_xcnt 0x0
	global_store_b64 v[2:3], v[52:53], off scope:SCOPE_SYS
	s_and_b32 m0, s6, 0xffffff
	s_sendmsg sendmsg(MSG_INTERRUPT)
.LBB3_128:                              ;   in Loop: Header=BB3_3 Depth=1
	s_wait_xcnt 0x0
	s_or_b32 exec_lo, exec_lo, s1
	v_mov_b32_e32 v23, v53
	s_delay_alu instid0(VALU_DEP_1)
	v_add_nc_u64_e32 v[0:1], v[6:7], v[22:23]
	s_branch .LBB3_132
.LBB3_129:                              ;   in Loop: Header=BB3_132 Depth=2
	s_wait_xcnt 0x0
	s_or_b32 exec_lo, exec_lo, s1
	s_delay_alu instid0(VALU_DEP_1)
	v_readfirstlane_b32 s1, v2
	s_cmp_eq_u32 s1, 0
	s_cbranch_scc1 .LBB3_131
; %bb.130:                              ;   in Loop: Header=BB3_132 Depth=2
	s_sleep 1
	s_cbranch_execnz .LBB3_132
	s_branch .LBB3_134
.LBB3_131:                              ;   in Loop: Header=BB3_3 Depth=1
	s_branch .LBB3_134
.LBB3_132:                              ;   Parent Loop BB3_3 Depth=1
                                        ; =>  This Inner Loop Header: Depth=2
	v_mov_b32_e32 v2, 1
	s_and_saveexec_b32 s1, s0
	s_cbranch_execz .LBB3_129
; %bb.133:                              ;   in Loop: Header=BB3_132 Depth=2
	global_load_b32 v2, v[8:9], off offset:20 scope:SCOPE_SYS
	s_wait_loadcnt 0x0
	global_inv scope:SCOPE_SYS
	v_and_b32_e32 v2, 1, v2
	s_branch .LBB3_129
.LBB3_134:                              ;   in Loop: Header=BB3_3 Depth=1
	global_load_b64 v[2:3], v[0:1], off
	s_wait_xcnt 0x0
	s_and_saveexec_b32 s6, s0
	s_cbranch_execz .LBB3_138
; %bb.135:                              ;   in Loop: Header=BB3_3 Depth=1
	s_clause 0x2
	global_load_b64 v[0:1], v53, s[2:3] offset:40
	global_load_b64 v[8:9], v53, s[2:3] offset:24 scope:SCOPE_SYS
	global_load_b64 v[4:5], v53, s[2:3]
	s_wait_loadcnt 0x2
	v_readfirstlane_b32 s8, v0
	v_readfirstlane_b32 s9, v1
	s_add_nc_u64 s[0:1], s[8:9], 1
	s_delay_alu instid0(SALU_CYCLE_1) | instskip(NEXT) | instid1(SALU_CYCLE_1)
	s_add_nc_u64 s[4:5], s[0:1], s[4:5]
	s_cmp_eq_u64 s[4:5], 0
	s_cselect_b32 s1, s1, s5
	s_cselect_b32 s0, s0, s4
	s_delay_alu instid0(SALU_CYCLE_1) | instskip(SKIP_1) | instid1(SALU_CYCLE_1)
	v_dual_mov_b32 v7, s1 :: v_dual_mov_b32 v6, s0
	s_and_b64 s[4:5], s[0:1], s[8:9]
	s_mul_u64 s[4:5], s[4:5], 24
	s_wait_loadcnt 0x0
	v_add_nc_u64_e32 v[0:1], s[4:5], v[4:5]
	global_store_b64 v[0:1], v[8:9], off
	global_wb scope:SCOPE_SYS
	s_wait_storecnt 0x0
	s_wait_xcnt 0x0
	global_atomic_cmpswap_b64 v[6:7], v53, v[6:9], s[2:3] offset:24 th:TH_ATOMIC_RETURN scope:SCOPE_SYS
	s_wait_loadcnt 0x0
	v_cmp_ne_u64_e32 vcc_lo, v[6:7], v[8:9]
	s_and_b32 exec_lo, exec_lo, vcc_lo
	s_cbranch_execz .LBB3_138
; %bb.136:                              ;   in Loop: Header=BB3_3 Depth=1
	s_mov_b32 s4, 0
.LBB3_137:                              ;   Parent Loop BB3_3 Depth=1
                                        ; =>  This Inner Loop Header: Depth=2
	v_dual_mov_b32 v4, s0 :: v_dual_mov_b32 v5, s1
	s_sleep 1
	global_store_b64 v[0:1], v[6:7], off
	global_wb scope:SCOPE_SYS
	s_wait_storecnt 0x0
	s_wait_xcnt 0x0
	global_atomic_cmpswap_b64 v[4:5], v53, v[4:7], s[2:3] offset:24 th:TH_ATOMIC_RETURN scope:SCOPE_SYS
	s_wait_loadcnt 0x0
	v_cmp_eq_u64_e32 vcc_lo, v[4:5], v[6:7]
	v_mov_b64_e32 v[6:7], v[4:5]
	s_or_b32 s4, vcc_lo, s4
	s_delay_alu instid0(SALU_CYCLE_1)
	s_and_not1_b32 exec_lo, exec_lo, s4
	s_cbranch_execnz .LBB3_137
.LBB3_138:                              ;   in Loop: Header=BB3_3 Depth=1
	s_or_b32 exec_lo, exec_lo, s6
.LBB3_139:                              ;   in Loop: Header=BB3_3 Depth=1
	v_readfirstlane_b32 s0, v80
	s_wait_loadcnt 0x0
	v_mov_b64_e32 v[0:1], 0
	s_delay_alu instid0(VALU_DEP_2)
	v_cmp_eq_u32_e64 s0, s0, v80
	s_and_saveexec_b32 s1, s0
	s_cbranch_execz .LBB3_145
; %bb.140:                              ;   in Loop: Header=BB3_3 Depth=1
	global_load_b64 v[6:7], v53, s[2:3] offset:24 scope:SCOPE_SYS
	s_wait_loadcnt 0x0
	global_inv scope:SCOPE_SYS
	s_clause 0x1
	global_load_b64 v[0:1], v53, s[2:3] offset:40
	global_load_b64 v[4:5], v53, s[2:3]
	s_mov_b32 s4, exec_lo
	s_wait_loadcnt 0x1
	v_and_b32_e32 v0, v0, v6
	v_and_b32_e32 v1, v1, v7
	s_delay_alu instid0(VALU_DEP_1) | instskip(SKIP_1) | instid1(VALU_DEP_1)
	v_mul_u64_e32 v[0:1], 24, v[0:1]
	s_wait_loadcnt 0x0
	v_add_nc_u64_e32 v[0:1], v[4:5], v[0:1]
	global_load_b64 v[4:5], v[0:1], off scope:SCOPE_SYS
	s_wait_xcnt 0x0
	s_wait_loadcnt 0x0
	global_atomic_cmpswap_b64 v[0:1], v53, v[4:7], s[2:3] offset:24 th:TH_ATOMIC_RETURN scope:SCOPE_SYS
	s_wait_loadcnt 0x0
	global_inv scope:SCOPE_SYS
	s_wait_xcnt 0x0
	v_cmpx_ne_u64_e64 v[0:1], v[6:7]
	s_cbranch_execz .LBB3_144
; %bb.141:                              ;   in Loop: Header=BB3_3 Depth=1
	s_mov_b32 s5, 0
.LBB3_142:                              ;   Parent Loop BB3_3 Depth=1
                                        ; =>  This Inner Loop Header: Depth=2
	s_sleep 1
	s_clause 0x1
	global_load_b64 v[4:5], v53, s[2:3] offset:40
	global_load_b64 v[8:9], v53, s[2:3]
	v_mov_b64_e32 v[6:7], v[0:1]
	s_wait_loadcnt 0x1
	s_delay_alu instid0(VALU_DEP_1) | instskip(NEXT) | instid1(VALU_DEP_2)
	v_and_b32_e32 v0, v4, v6
	v_and_b32_e32 v4, v5, v7
	s_wait_loadcnt 0x0
	s_delay_alu instid0(VALU_DEP_2) | instskip(NEXT) | instid1(VALU_DEP_1)
	v_mad_nc_u64_u32 v[0:1], v0, 24, v[8:9]
	v_mad_u32 v1, v4, 24, v1
	global_load_b64 v[4:5], v[0:1], off scope:SCOPE_SYS
	s_wait_xcnt 0x0
	s_wait_loadcnt 0x0
	global_atomic_cmpswap_b64 v[0:1], v53, v[4:7], s[2:3] offset:24 th:TH_ATOMIC_RETURN scope:SCOPE_SYS
	s_wait_loadcnt 0x0
	global_inv scope:SCOPE_SYS
	v_cmp_eq_u64_e32 vcc_lo, v[0:1], v[6:7]
	s_or_b32 s5, vcc_lo, s5
	s_wait_xcnt 0x0
	s_and_not1_b32 exec_lo, exec_lo, s5
	s_cbranch_execnz .LBB3_142
; %bb.143:                              ;   in Loop: Header=BB3_3 Depth=1
	s_or_b32 exec_lo, exec_lo, s5
.LBB3_144:                              ;   in Loop: Header=BB3_3 Depth=1
	s_delay_alu instid0(SALU_CYCLE_1)
	s_or_b32 exec_lo, exec_lo, s4
.LBB3_145:                              ;   in Loop: Header=BB3_3 Depth=1
	s_delay_alu instid0(SALU_CYCLE_1)
	s_or_b32 exec_lo, exec_lo, s1
	s_clause 0x1
	global_load_b64 v[4:5], v53, s[2:3] offset:40
	global_load_b128 v[6:9], v53, s[2:3]
	v_readfirstlane_b32 s4, v0
	v_readfirstlane_b32 s5, v1
	s_mov_b32 s1, exec_lo
	s_wait_loadcnt 0x1
	v_and_b32_e32 v0, s4, v4
	v_and_b32_e32 v1, s5, v5
	s_delay_alu instid0(VALU_DEP_1) | instskip(SKIP_1) | instid1(VALU_DEP_1)
	v_mul_u64_e32 v[4:5], 24, v[0:1]
	s_wait_loadcnt 0x0
	v_add_nc_u64_e32 v[10:11], v[6:7], v[4:5]
	s_wait_xcnt 0x0
	s_and_saveexec_b32 s6, s0
	s_cbranch_execz .LBB3_147
; %bb.146:                              ;   in Loop: Header=BB3_3 Depth=1
	v_mov_b32_e32 v52, s1
	global_store_b128 v[10:11], v[52:55], off offset:8
.LBB3_147:                              ;   in Loop: Header=BB3_3 Depth=1
	s_wait_xcnt 0x0
	s_or_b32 exec_lo, exec_lo, s6
	v_lshlrev_b64_e32 v[0:1], 12, v[0:1]
	s_mov_b32 s17, s16
	s_mov_b32 s18, s16
	s_mov_b32 s19, s16
	v_mov_b64_e32 v[12:13], s[16:17]
	v_mov_b64_e32 v[14:15], s[18:19]
	v_and_or_b32 v2, 0xffffff1f, v2, 32
	v_add_nc_u64_e32 v[8:9], v[8:9], v[0:1]
	v_dual_mov_b32 v4, v50 :: v_dual_mov_b32 v5, v51
	s_delay_alu instid0(VALU_DEP_2) | instskip(NEXT) | instid1(VALU_DEP_3)
	v_readfirstlane_b32 s6, v8
	v_readfirstlane_b32 s7, v9
	s_clause 0x3
	global_store_b128 v22, v[2:5], s[6:7]
	global_store_b128 v22, v[12:15], s[6:7] offset:16
	global_store_b128 v22, v[12:15], s[6:7] offset:32
	;; [unrolled: 1-line block ×3, first 2 shown]
	s_wait_xcnt 0x0
	s_and_saveexec_b32 s1, s0
	s_cbranch_execz .LBB3_155
; %bb.148:                              ;   in Loop: Header=BB3_3 Depth=1
	s_clause 0x1
	global_load_b64 v[14:15], v53, s[2:3] offset:32 scope:SCOPE_SYS
	global_load_b64 v[0:1], v53, s[2:3] offset:40
	s_mov_b32 s6, exec_lo
	v_dual_mov_b32 v12, s4 :: v_dual_mov_b32 v13, s5
	s_wait_loadcnt 0x0
	v_and_b32_e32 v1, s5, v1
	v_and_b32_e32 v0, s4, v0
	s_delay_alu instid0(VALU_DEP_1) | instskip(NEXT) | instid1(VALU_DEP_1)
	v_mul_u64_e32 v[0:1], 24, v[0:1]
	v_add_nc_u64_e32 v[4:5], v[6:7], v[0:1]
	global_store_b64 v[4:5], v[14:15], off
	global_wb scope:SCOPE_SYS
	s_wait_storecnt 0x0
	s_wait_xcnt 0x0
	global_atomic_cmpswap_b64 v[2:3], v53, v[12:15], s[2:3] offset:32 th:TH_ATOMIC_RETURN scope:SCOPE_SYS
	s_wait_loadcnt 0x0
	v_cmpx_ne_u64_e64 v[2:3], v[14:15]
	s_cbranch_execz .LBB3_151
; %bb.149:                              ;   in Loop: Header=BB3_3 Depth=1
	s_mov_b32 s7, 0
.LBB3_150:                              ;   Parent Loop BB3_3 Depth=1
                                        ; =>  This Inner Loop Header: Depth=2
	v_dual_mov_b32 v0, s4 :: v_dual_mov_b32 v1, s5
	s_sleep 1
	global_store_b64 v[4:5], v[2:3], off
	global_wb scope:SCOPE_SYS
	s_wait_storecnt 0x0
	s_wait_xcnt 0x0
	global_atomic_cmpswap_b64 v[0:1], v53, v[0:3], s[2:3] offset:32 th:TH_ATOMIC_RETURN scope:SCOPE_SYS
	s_wait_loadcnt 0x0
	v_cmp_eq_u64_e32 vcc_lo, v[0:1], v[2:3]
	v_mov_b64_e32 v[2:3], v[0:1]
	s_or_b32 s7, vcc_lo, s7
	s_delay_alu instid0(SALU_CYCLE_1)
	s_and_not1_b32 exec_lo, exec_lo, s7
	s_cbranch_execnz .LBB3_150
.LBB3_151:                              ;   in Loop: Header=BB3_3 Depth=1
	s_or_b32 exec_lo, exec_lo, s6
	global_load_b64 v[0:1], v53, s[2:3] offset:16
	s_mov_b32 s7, exec_lo
	s_mov_b32 s6, exec_lo
	v_mbcnt_lo_u32_b32 v2, s7, 0
	s_wait_xcnt 0x0
	s_delay_alu instid0(VALU_DEP_1)
	v_cmpx_eq_u32_e32 0, v2
	s_cbranch_execz .LBB3_153
; %bb.152:                              ;   in Loop: Header=BB3_3 Depth=1
	s_bcnt1_i32_b32 s7, s7
	s_delay_alu instid0(SALU_CYCLE_1)
	v_mov_b32_e32 v52, s7
	global_wb scope:SCOPE_SYS
	s_wait_loadcnt 0x0
	s_wait_storecnt 0x0
	global_atomic_add_u64 v[0:1], v[52:53], off offset:8 scope:SCOPE_SYS
.LBB3_153:                              ;   in Loop: Header=BB3_3 Depth=1
	s_wait_xcnt 0x0
	s_or_b32 exec_lo, exec_lo, s6
	s_wait_loadcnt 0x0
	global_load_b64 v[2:3], v[0:1], off offset:16
	s_wait_loadcnt 0x0
	v_cmp_eq_u64_e32 vcc_lo, 0, v[2:3]
	s_cbranch_vccnz .LBB3_155
; %bb.154:                              ;   in Loop: Header=BB3_3 Depth=1
	global_load_b32 v52, v[0:1], off offset:24
	s_wait_loadcnt 0x0
	v_readfirstlane_b32 s6, v52
	global_wb scope:SCOPE_SYS
	s_wait_storecnt 0x0
	s_wait_xcnt 0x0
	global_store_b64 v[2:3], v[52:53], off scope:SCOPE_SYS
	s_and_b32 m0, s6, 0xffffff
	s_sendmsg sendmsg(MSG_INTERRUPT)
.LBB3_155:                              ;   in Loop: Header=BB3_3 Depth=1
	s_wait_xcnt 0x0
	s_or_b32 exec_lo, exec_lo, s1
	v_mov_b32_e32 v23, v53
	s_delay_alu instid0(VALU_DEP_1)
	v_add_nc_u64_e32 v[0:1], v[8:9], v[22:23]
	s_branch .LBB3_159
.LBB3_156:                              ;   in Loop: Header=BB3_159 Depth=2
	s_wait_xcnt 0x0
	s_or_b32 exec_lo, exec_lo, s1
	s_delay_alu instid0(VALU_DEP_1)
	v_readfirstlane_b32 s1, v2
	s_cmp_eq_u32 s1, 0
	s_cbranch_scc1 .LBB3_158
; %bb.157:                              ;   in Loop: Header=BB3_159 Depth=2
	s_sleep 1
	s_cbranch_execnz .LBB3_159
	s_branch .LBB3_161
.LBB3_158:                              ;   in Loop: Header=BB3_3 Depth=1
	s_branch .LBB3_161
.LBB3_159:                              ;   Parent Loop BB3_3 Depth=1
                                        ; =>  This Inner Loop Header: Depth=2
	v_mov_b32_e32 v2, 1
	s_and_saveexec_b32 s1, s0
	s_cbranch_execz .LBB3_156
; %bb.160:                              ;   in Loop: Header=BB3_159 Depth=2
	global_load_b32 v2, v[10:11], off offset:20 scope:SCOPE_SYS
	s_wait_loadcnt 0x0
	global_inv scope:SCOPE_SYS
	v_and_b32_e32 v2, 1, v2
	s_branch .LBB3_156
.LBB3_161:                              ;   in Loop: Header=BB3_3 Depth=1
	global_load_b64 v[0:1], v[0:1], off
	s_wait_xcnt 0x0
	s_and_saveexec_b32 s6, s0
	s_cbranch_execz .LBB3_165
; %bb.162:                              ;   in Loop: Header=BB3_3 Depth=1
	s_clause 0x2
	global_load_b64 v[2:3], v53, s[2:3] offset:40
	global_load_b64 v[10:11], v53, s[2:3] offset:24 scope:SCOPE_SYS
	global_load_b64 v[4:5], v53, s[2:3]
	s_wait_loadcnt 0x2
	v_readfirstlane_b32 s8, v2
	v_readfirstlane_b32 s9, v3
	s_add_nc_u64 s[0:1], s[8:9], 1
	s_delay_alu instid0(SALU_CYCLE_1) | instskip(NEXT) | instid1(SALU_CYCLE_1)
	s_add_nc_u64 s[4:5], s[0:1], s[4:5]
	s_cmp_eq_u64 s[4:5], 0
	s_cselect_b32 s1, s1, s5
	s_cselect_b32 s0, s0, s4
	s_delay_alu instid0(SALU_CYCLE_1) | instskip(SKIP_1) | instid1(SALU_CYCLE_1)
	v_dual_mov_b32 v9, s1 :: v_dual_mov_b32 v8, s0
	s_and_b64 s[4:5], s[0:1], s[8:9]
	s_mul_u64 s[4:5], s[4:5], 24
	s_wait_loadcnt 0x0
	v_add_nc_u64_e32 v[6:7], s[4:5], v[4:5]
	global_store_b64 v[6:7], v[10:11], off
	global_wb scope:SCOPE_SYS
	s_wait_storecnt 0x0
	s_wait_xcnt 0x0
	global_atomic_cmpswap_b64 v[4:5], v53, v[8:11], s[2:3] offset:24 th:TH_ATOMIC_RETURN scope:SCOPE_SYS
	s_wait_loadcnt 0x0
	v_cmp_ne_u64_e32 vcc_lo, v[4:5], v[10:11]
	s_and_b32 exec_lo, exec_lo, vcc_lo
	s_cbranch_execz .LBB3_165
; %bb.163:                              ;   in Loop: Header=BB3_3 Depth=1
	s_mov_b32 s4, 0
.LBB3_164:                              ;   Parent Loop BB3_3 Depth=1
                                        ; =>  This Inner Loop Header: Depth=2
	v_dual_mov_b32 v2, s0 :: v_dual_mov_b32 v3, s1
	s_sleep 1
	global_store_b64 v[6:7], v[4:5], off
	global_wb scope:SCOPE_SYS
	s_wait_storecnt 0x0
	s_wait_xcnt 0x0
	global_atomic_cmpswap_b64 v[2:3], v53, v[2:5], s[2:3] offset:24 th:TH_ATOMIC_RETURN scope:SCOPE_SYS
	s_wait_loadcnt 0x0
	v_cmp_eq_u64_e32 vcc_lo, v[2:3], v[4:5]
	v_mov_b64_e32 v[4:5], v[2:3]
	s_or_b32 s4, vcc_lo, s4
	s_delay_alu instid0(SALU_CYCLE_1)
	s_and_not1_b32 exec_lo, exec_lo, s4
	s_cbranch_execnz .LBB3_164
.LBB3_165:                              ;   in Loop: Header=BB3_3 Depth=1
	s_or_b32 exec_lo, exec_lo, s6
	s_wait_dscnt 0x1
	v_mul_lo_u32 v2, v30, v30
	s_wait_dscnt 0x0
	v_mul_lo_u32 v3, v32, v32
	s_mov_b64 s[8:9], s[14:15]
	s_delay_alu instid0(VALU_DEP_1) | instskip(NEXT) | instid1(VALU_DEP_1)
	v_dual_sub_nc_u32 v4, v2, v3 :: v_dual_add_nc_u32 v2, v3, v2
	v_cvt_f32_u32_e32 v5, v4
	s_delay_alu instid0(VALU_DEP_1) | instskip(SKIP_1) | instid1(TRANS32_DEP_1)
	v_rcp_iflag_f32_e32 v5, v5
	v_nop
	v_dual_mul_f32 v5, 0x4f7ffffe, v5 :: v_dual_sub_nc_u32 v6, 0, v4
	s_delay_alu instid0(VALU_DEP_1) | instskip(NEXT) | instid1(VALU_DEP_1)
	v_cvt_u32_f32_e32 v5, v5
	v_mul_lo_u32 v6, v6, v5
	s_delay_alu instid0(VALU_DEP_1) | instskip(NEXT) | instid1(VALU_DEP_1)
	v_mul_hi_u32 v6, v5, v6
	v_add_nc_u32_e32 v3, v5, v6
	s_delay_alu instid0(VALU_DEP_1) | instskip(NEXT) | instid1(VALU_DEP_1)
	v_mul_hi_u32 v3, v2, v3
	v_mul_lo_u32 v5, v3, v4
	s_delay_alu instid0(VALU_DEP_1) | instskip(NEXT) | instid1(VALU_DEP_1)
	v_dual_sub_nc_u32 v2, v2, v5 :: v_dual_add_nc_u32 v5, 1, v3
	v_sub_nc_u32_e32 v6, v2, v4
	v_cmp_ge_u32_e32 vcc_lo, v2, v4
	s_delay_alu instid0(VALU_DEP_2) | instskip(NEXT) | instid1(VALU_DEP_1)
	v_dual_cndmask_b32 v3, v3, v5 :: v_dual_cndmask_b32 v2, v2, v6
	v_add_nc_u32_e32 v5, 1, v3
	s_delay_alu instid0(VALU_DEP_2) | instskip(NEXT) | instid1(VALU_DEP_2)
	v_cmp_ge_u32_e32 vcc_lo, v2, v4
	v_dual_mov_b32 v4, v53 :: v_dual_cndmask_b32 v2, v3, v5, vcc_lo
	v_mov_b32_e32 v3, v53
	s_delay_alu instid0(VALU_DEP_2) | instskip(NEXT) | instid1(VALU_DEP_1)
	v_cvt_f32_u32_e32 v2, v2
	v_cvt_f64_f32_e32 v[20:21], v2
	v_mov_b32_e32 v2, v50
	s_swap_pc_i64 s[30:31], s[44:45]
	s_delay_alu instid0(VALU_DEP_2)
	v_dual_mov_b32 v2, v20 :: v_dual_mov_b32 v3, v21
	v_mov_b32_e32 v4, v53
	s_mov_b64 s[8:9], s[14:15]
	s_swap_pc_i64 s[30:31], s[44:45]
	v_dual_mov_b32 v2, v20 :: v_dual_mov_b32 v3, v21
	v_mov_b32_e32 v4, 1
	s_mov_b64 s[8:9], s[14:15]
	s_swap_pc_i64 s[30:31], s[44:45]
                                        ; implicit-def: $vgpr30
.LBB3_166:                              ;   in Loop: Header=BB3_3 Depth=1
	s_and_not1_saveexec_b32 s56, s56
	s_cbranch_execz .LBB3_189
; %bb.167:                              ;   in Loop: Header=BB3_3 Depth=1
	flat_load_b32 v32, v[70:71]
	s_load_b64 s[2:3], s[14:15], 0x50
	v_readfirstlane_b32 s0, v80
	v_mov_b64_e32 v[4:5], 0
	s_delay_alu instid0(VALU_DEP_2)
	v_cmp_eq_u32_e64 s0, s0, v80
	s_and_saveexec_b32 s1, s0
	s_cbranch_execz .LBB3_173
; %bb.168:                              ;   in Loop: Header=BB3_3 Depth=1
	s_wait_kmcnt 0x0
	global_load_b64 v[2:3], v53, s[2:3] offset:24 scope:SCOPE_SYS
	s_wait_loadcnt 0x0
	global_inv scope:SCOPE_SYS
	s_clause 0x1
	global_load_b64 v[0:1], v53, s[2:3] offset:40
	global_load_b64 v[4:5], v53, s[2:3]
	s_mov_b32 s4, exec_lo
	s_wait_loadcnt 0x1
	v_and_b32_e32 v0, v0, v2
	v_and_b32_e32 v1, v1, v3
	s_delay_alu instid0(VALU_DEP_1) | instskip(SKIP_1) | instid1(VALU_DEP_1)
	v_mul_u64_e32 v[0:1], 24, v[0:1]
	s_wait_loadcnt 0x0
	v_add_nc_u64_e32 v[0:1], v[4:5], v[0:1]
	global_load_b64 v[0:1], v[0:1], off scope:SCOPE_SYS
	s_wait_xcnt 0x0
	s_wait_loadcnt 0x0
	global_atomic_cmpswap_b64 v[4:5], v53, v[0:3], s[2:3] offset:24 th:TH_ATOMIC_RETURN scope:SCOPE_SYS
	s_wait_loadcnt 0x0
	global_inv scope:SCOPE_SYS
	s_wait_xcnt 0x0
	v_cmpx_ne_u64_e64 v[4:5], v[2:3]
	s_cbranch_execz .LBB3_172
; %bb.169:                              ;   in Loop: Header=BB3_3 Depth=1
	s_mov_b32 s5, 0
.LBB3_170:                              ;   Parent Loop BB3_3 Depth=1
                                        ; =>  This Inner Loop Header: Depth=2
	s_sleep 1
	s_clause 0x1
	global_load_b64 v[0:1], v53, s[2:3] offset:40
	global_load_b64 v[6:7], v53, s[2:3]
	v_mov_b64_e32 v[2:3], v[4:5]
	s_wait_loadcnt 0x1
	s_delay_alu instid0(VALU_DEP_1) | instskip(SKIP_1) | instid1(VALU_DEP_1)
	v_and_b32_e32 v0, v0, v2
	s_wait_loadcnt 0x0
	v_mad_nc_u64_u32 v[4:5], v0, 24, v[6:7]
	s_delay_alu instid0(VALU_DEP_3) | instskip(NEXT) | instid1(VALU_DEP_1)
	v_and_b32_e32 v0, v1, v3
	v_mad_u32 v5, v0, 24, v5
	global_load_b64 v[0:1], v[4:5], off scope:SCOPE_SYS
	s_wait_xcnt 0x0
	s_wait_loadcnt 0x0
	global_atomic_cmpswap_b64 v[4:5], v53, v[0:3], s[2:3] offset:24 th:TH_ATOMIC_RETURN scope:SCOPE_SYS
	s_wait_loadcnt 0x0
	global_inv scope:SCOPE_SYS
	v_cmp_eq_u64_e32 vcc_lo, v[4:5], v[2:3]
	s_or_b32 s5, vcc_lo, s5
	s_wait_xcnt 0x0
	s_and_not1_b32 exec_lo, exec_lo, s5
	s_cbranch_execnz .LBB3_170
; %bb.171:                              ;   in Loop: Header=BB3_3 Depth=1
	s_or_b32 exec_lo, exec_lo, s5
.LBB3_172:                              ;   in Loop: Header=BB3_3 Depth=1
	s_delay_alu instid0(SALU_CYCLE_1)
	s_or_b32 exec_lo, exec_lo, s4
.LBB3_173:                              ;   in Loop: Header=BB3_3 Depth=1
	s_delay_alu instid0(SALU_CYCLE_1)
	s_or_b32 exec_lo, exec_lo, s1
	s_wait_kmcnt 0x0
	s_clause 0x1
	global_load_b64 v[6:7], v53, s[2:3] offset:40
	global_load_b128 v[0:3], v53, s[2:3]
	v_readfirstlane_b32 s4, v4
	v_readfirstlane_b32 s5, v5
	s_mov_b32 s1, exec_lo
	s_wait_loadcnt 0x1
	v_and_b32_e32 v6, s4, v6
	v_and_b32_e32 v7, s5, v7
	s_delay_alu instid0(VALU_DEP_1) | instskip(SKIP_1) | instid1(VALU_DEP_1)
	v_mul_u64_e32 v[4:5], 24, v[6:7]
	s_wait_loadcnt 0x0
	v_add_nc_u64_e32 v[4:5], v[0:1], v[4:5]
	s_wait_xcnt 0x0
	s_and_saveexec_b32 s6, s0
	s_cbranch_execz .LBB3_175
; %bb.174:                              ;   in Loop: Header=BB3_3 Depth=1
	v_mov_b32_e32 v52, s1
	global_store_b128 v[4:5], v[52:55], off offset:8
.LBB3_175:                              ;   in Loop: Header=BB3_3 Depth=1
	s_wait_xcnt 0x0
	s_or_b32 exec_lo, exec_lo, s6
	v_lshlrev_b64_e32 v[6:7], 12, v[6:7]
	s_mov_b32 s17, s16
	s_mov_b32 s18, s16
	s_mov_b32 s19, s16
	v_mov_b64_e32 v[8:9], s[16:17]
	v_mov_b64_e32 v[10:11], s[18:19]
	v_dual_mov_b32 v65, v53 :: v_dual_lshlrev_b32 v22, 6, v80
	v_add_nc_u64_e32 v[6:7], v[2:3], v[6:7]
	v_dual_mov_b32 v66, v53 :: v_dual_mov_b32 v67, v53
	s_delay_alu instid0(VALU_DEP_2) | instskip(NEXT) | instid1(VALU_DEP_3)
	v_readfirstlane_b32 s6, v6
	v_readfirstlane_b32 s7, v7
	s_clause 0x3
	global_store_b128 v22, v[64:67], s[6:7]
	global_store_b128 v22, v[8:11], s[6:7] offset:16
	global_store_b128 v22, v[8:11], s[6:7] offset:32
	;; [unrolled: 1-line block ×3, first 2 shown]
	s_wait_xcnt 0x0
	s_and_saveexec_b32 s1, s0
	s_cbranch_execz .LBB3_183
; %bb.176:                              ;   in Loop: Header=BB3_3 Depth=1
	s_clause 0x1
	global_load_b64 v[12:13], v53, s[2:3] offset:32 scope:SCOPE_SYS
	global_load_b64 v[2:3], v53, s[2:3] offset:40
	s_mov_b32 s6, exec_lo
	v_dual_mov_b32 v10, s4 :: v_dual_mov_b32 v11, s5
	s_wait_loadcnt 0x0
	v_and_b32_e32 v3, s5, v3
	v_and_b32_e32 v2, s4, v2
	s_delay_alu instid0(VALU_DEP_1) | instskip(NEXT) | instid1(VALU_DEP_1)
	v_mul_u64_e32 v[2:3], 24, v[2:3]
	v_add_nc_u64_e32 v[8:9], v[0:1], v[2:3]
	global_store_b64 v[8:9], v[12:13], off
	global_wb scope:SCOPE_SYS
	s_wait_storecnt 0x0
	s_wait_xcnt 0x0
	global_atomic_cmpswap_b64 v[2:3], v53, v[10:13], s[2:3] offset:32 th:TH_ATOMIC_RETURN scope:SCOPE_SYS
	s_wait_loadcnt 0x0
	v_cmpx_ne_u64_e64 v[2:3], v[12:13]
	s_cbranch_execz .LBB3_179
; %bb.177:                              ;   in Loop: Header=BB3_3 Depth=1
	s_mov_b32 s7, 0
.LBB3_178:                              ;   Parent Loop BB3_3 Depth=1
                                        ; =>  This Inner Loop Header: Depth=2
	v_dual_mov_b32 v0, s4 :: v_dual_mov_b32 v1, s5
	s_sleep 1
	global_store_b64 v[8:9], v[2:3], off
	global_wb scope:SCOPE_SYS
	s_wait_storecnt 0x0
	s_wait_xcnt 0x0
	global_atomic_cmpswap_b64 v[0:1], v53, v[0:3], s[2:3] offset:32 th:TH_ATOMIC_RETURN scope:SCOPE_SYS
	s_wait_loadcnt 0x0
	v_cmp_eq_u64_e32 vcc_lo, v[0:1], v[2:3]
	v_mov_b64_e32 v[2:3], v[0:1]
	s_or_b32 s7, vcc_lo, s7
	s_delay_alu instid0(SALU_CYCLE_1)
	s_and_not1_b32 exec_lo, exec_lo, s7
	s_cbranch_execnz .LBB3_178
.LBB3_179:                              ;   in Loop: Header=BB3_3 Depth=1
	s_or_b32 exec_lo, exec_lo, s6
	global_load_b64 v[0:1], v53, s[2:3] offset:16
	s_mov_b32 s7, exec_lo
	s_mov_b32 s6, exec_lo
	v_mbcnt_lo_u32_b32 v2, s7, 0
	s_wait_xcnt 0x0
	s_delay_alu instid0(VALU_DEP_1)
	v_cmpx_eq_u32_e32 0, v2
	s_cbranch_execz .LBB3_181
; %bb.180:                              ;   in Loop: Header=BB3_3 Depth=1
	s_bcnt1_i32_b32 s7, s7
	s_delay_alu instid0(SALU_CYCLE_1)
	v_mov_b32_e32 v52, s7
	global_wb scope:SCOPE_SYS
	s_wait_loadcnt 0x0
	s_wait_storecnt 0x0
	global_atomic_add_u64 v[0:1], v[52:53], off offset:8 scope:SCOPE_SYS
.LBB3_181:                              ;   in Loop: Header=BB3_3 Depth=1
	s_wait_xcnt 0x0
	s_or_b32 exec_lo, exec_lo, s6
	s_wait_loadcnt 0x0
	global_load_b64 v[2:3], v[0:1], off offset:16
	s_wait_loadcnt 0x0
	v_cmp_eq_u64_e32 vcc_lo, 0, v[2:3]
	s_cbranch_vccnz .LBB3_183
; %bb.182:                              ;   in Loop: Header=BB3_3 Depth=1
	global_load_b32 v52, v[0:1], off offset:24
	s_wait_loadcnt 0x0
	v_readfirstlane_b32 s6, v52
	global_wb scope:SCOPE_SYS
	s_wait_storecnt 0x0
	s_wait_xcnt 0x0
	global_store_b64 v[2:3], v[52:53], off scope:SCOPE_SYS
	s_and_b32 m0, s6, 0xffffff
	s_sendmsg sendmsg(MSG_INTERRUPT)
.LBB3_183:                              ;   in Loop: Header=BB3_3 Depth=1
	s_wait_xcnt 0x0
	s_or_b32 exec_lo, exec_lo, s1
	v_mov_b32_e32 v23, v53
	s_delay_alu instid0(VALU_DEP_1)
	v_add_nc_u64_e32 v[0:1], v[6:7], v[22:23]
	s_branch .LBB3_187
.LBB3_184:                              ;   in Loop: Header=BB3_187 Depth=2
	s_wait_xcnt 0x0
	s_or_b32 exec_lo, exec_lo, s1
	s_delay_alu instid0(VALU_DEP_1)
	v_readfirstlane_b32 s1, v2
	s_cmp_eq_u32 s1, 0
	s_cbranch_scc1 .LBB3_186
; %bb.185:                              ;   in Loop: Header=BB3_187 Depth=2
	s_sleep 1
	s_cbranch_execnz .LBB3_187
	s_branch .LBB3_296
.LBB3_186:                              ;   in Loop: Header=BB3_3 Depth=1
	s_branch .LBB3_296
.LBB3_187:                              ;   Parent Loop BB3_3 Depth=1
                                        ; =>  This Inner Loop Header: Depth=2
	v_mov_b32_e32 v2, 1
	s_and_saveexec_b32 s1, s0
	s_cbranch_execz .LBB3_184
; %bb.188:                              ;   in Loop: Header=BB3_187 Depth=2
	global_load_b32 v2, v[4:5], off offset:20 scope:SCOPE_SYS
	s_wait_loadcnt 0x0
	global_inv scope:SCOPE_SYS
	v_and_b32_e32 v2, 1, v2
	s_branch .LBB3_184
.LBB3_189:                              ;   in Loop: Header=BB3_3 Depth=1
	s_or_b32 exec_lo, exec_lo, s56
                                        ; implicit-def: $vgpr30
.LBB3_190:                              ;   in Loop: Header=BB3_3 Depth=1
	s_and_not1_saveexec_b32 s47, s47
	s_cbranch_execz .LBB3_511
.LBB3_191:                              ;   in Loop: Header=BB3_3 Depth=1
	flat_load_b32 v32, v[70:71]
	s_load_b64 s[2:3], s[14:15], 0x50
	v_readfirstlane_b32 s0, v80
	v_mov_b64_e32 v[4:5], 0
	s_delay_alu instid0(VALU_DEP_2)
	v_cmp_eq_u32_e64 s0, s0, v80
	s_and_saveexec_b32 s1, s0
	s_cbranch_execz .LBB3_197
; %bb.192:                              ;   in Loop: Header=BB3_3 Depth=1
	s_wait_kmcnt 0x0
	global_load_b64 v[2:3], v53, s[2:3] offset:24 scope:SCOPE_SYS
	s_wait_loadcnt 0x0
	global_inv scope:SCOPE_SYS
	s_clause 0x1
	global_load_b64 v[0:1], v53, s[2:3] offset:40
	global_load_b64 v[4:5], v53, s[2:3]
	s_mov_b32 s4, exec_lo
	s_wait_loadcnt 0x1
	v_and_b32_e32 v0, v0, v2
	v_and_b32_e32 v1, v1, v3
	s_delay_alu instid0(VALU_DEP_1) | instskip(SKIP_1) | instid1(VALU_DEP_1)
	v_mul_u64_e32 v[0:1], 24, v[0:1]
	s_wait_loadcnt 0x0
	v_add_nc_u64_e32 v[0:1], v[4:5], v[0:1]
	global_load_b64 v[0:1], v[0:1], off scope:SCOPE_SYS
	s_wait_xcnt 0x0
	s_wait_loadcnt 0x0
	global_atomic_cmpswap_b64 v[4:5], v53, v[0:3], s[2:3] offset:24 th:TH_ATOMIC_RETURN scope:SCOPE_SYS
	s_wait_loadcnt 0x0
	global_inv scope:SCOPE_SYS
	s_wait_xcnt 0x0
	v_cmpx_ne_u64_e64 v[4:5], v[2:3]
	s_cbranch_execz .LBB3_196
; %bb.193:                              ;   in Loop: Header=BB3_3 Depth=1
	s_mov_b32 s5, 0
.LBB3_194:                              ;   Parent Loop BB3_3 Depth=1
                                        ; =>  This Inner Loop Header: Depth=2
	s_sleep 1
	s_clause 0x1
	global_load_b64 v[0:1], v53, s[2:3] offset:40
	global_load_b64 v[6:7], v53, s[2:3]
	v_mov_b64_e32 v[2:3], v[4:5]
	s_wait_loadcnt 0x1
	s_delay_alu instid0(VALU_DEP_1) | instskip(SKIP_1) | instid1(VALU_DEP_1)
	v_and_b32_e32 v0, v0, v2
	s_wait_loadcnt 0x0
	v_mad_nc_u64_u32 v[4:5], v0, 24, v[6:7]
	s_delay_alu instid0(VALU_DEP_3) | instskip(NEXT) | instid1(VALU_DEP_1)
	v_and_b32_e32 v0, v1, v3
	v_mad_u32 v5, v0, 24, v5
	global_load_b64 v[0:1], v[4:5], off scope:SCOPE_SYS
	s_wait_xcnt 0x0
	s_wait_loadcnt 0x0
	global_atomic_cmpswap_b64 v[4:5], v53, v[0:3], s[2:3] offset:24 th:TH_ATOMIC_RETURN scope:SCOPE_SYS
	s_wait_loadcnt 0x0
	global_inv scope:SCOPE_SYS
	v_cmp_eq_u64_e32 vcc_lo, v[4:5], v[2:3]
	s_or_b32 s5, vcc_lo, s5
	s_wait_xcnt 0x0
	s_and_not1_b32 exec_lo, exec_lo, s5
	s_cbranch_execnz .LBB3_194
; %bb.195:                              ;   in Loop: Header=BB3_3 Depth=1
	s_or_b32 exec_lo, exec_lo, s5
.LBB3_196:                              ;   in Loop: Header=BB3_3 Depth=1
	s_delay_alu instid0(SALU_CYCLE_1)
	s_or_b32 exec_lo, exec_lo, s4
.LBB3_197:                              ;   in Loop: Header=BB3_3 Depth=1
	s_delay_alu instid0(SALU_CYCLE_1)
	s_or_b32 exec_lo, exec_lo, s1
	s_wait_kmcnt 0x0
	global_load_b64 v[6:7], v53, s[2:3] offset:40
	s_wait_loadcnt 0x2
	global_load_b128 v[0:3], v53, s[2:3]
	v_readfirstlane_b32 s4, v4
	v_readfirstlane_b32 s5, v5
	s_mov_b32 s1, exec_lo
	s_wait_loadcnt 0x1
	v_and_b32_e32 v6, s4, v6
	v_and_b32_e32 v7, s5, v7
	s_delay_alu instid0(VALU_DEP_1) | instskip(SKIP_1) | instid1(VALU_DEP_1)
	v_mul_u64_e32 v[4:5], 24, v[6:7]
	s_wait_loadcnt 0x0
	v_add_nc_u64_e32 v[4:5], v[0:1], v[4:5]
	s_wait_xcnt 0x0
	s_and_saveexec_b32 s6, s0
	s_cbranch_execz .LBB3_199
; %bb.198:                              ;   in Loop: Header=BB3_3 Depth=1
	v_mov_b32_e32 v52, s1
	global_store_b128 v[4:5], v[52:55], off offset:8
.LBB3_199:                              ;   in Loop: Header=BB3_3 Depth=1
	s_wait_xcnt 0x0
	s_or_b32 exec_lo, exec_lo, s6
	v_lshlrev_b64_e32 v[6:7], 12, v[6:7]
	s_mov_b32 s17, s16
	s_mov_b32 s18, s16
	;; [unrolled: 1-line block ×3, first 2 shown]
	v_mov_b64_e32 v[8:9], s[16:17]
	v_mov_b64_e32 v[10:11], s[18:19]
	v_dual_mov_b32 v65, v53 :: v_dual_lshlrev_b32 v22, 6, v80
	v_add_nc_u64_e32 v[6:7], v[2:3], v[6:7]
	v_dual_mov_b32 v66, v53 :: v_dual_mov_b32 v67, v53
	s_delay_alu instid0(VALU_DEP_2) | instskip(NEXT) | instid1(VALU_DEP_3)
	v_readfirstlane_b32 s6, v6
	v_readfirstlane_b32 s7, v7
	s_clause 0x3
	global_store_b128 v22, v[64:67], s[6:7]
	global_store_b128 v22, v[8:11], s[6:7] offset:16
	global_store_b128 v22, v[8:11], s[6:7] offset:32
	;; [unrolled: 1-line block ×3, first 2 shown]
	s_wait_xcnt 0x0
	s_and_saveexec_b32 s1, s0
	s_cbranch_execz .LBB3_207
; %bb.200:                              ;   in Loop: Header=BB3_3 Depth=1
	s_clause 0x1
	global_load_b64 v[12:13], v53, s[2:3] offset:32 scope:SCOPE_SYS
	global_load_b64 v[2:3], v53, s[2:3] offset:40
	s_mov_b32 s6, exec_lo
	v_dual_mov_b32 v10, s4 :: v_dual_mov_b32 v11, s5
	s_wait_loadcnt 0x0
	v_and_b32_e32 v3, s5, v3
	v_and_b32_e32 v2, s4, v2
	s_delay_alu instid0(VALU_DEP_1) | instskip(NEXT) | instid1(VALU_DEP_1)
	v_mul_u64_e32 v[2:3], 24, v[2:3]
	v_add_nc_u64_e32 v[8:9], v[0:1], v[2:3]
	global_store_b64 v[8:9], v[12:13], off
	global_wb scope:SCOPE_SYS
	s_wait_storecnt 0x0
	s_wait_xcnt 0x0
	global_atomic_cmpswap_b64 v[2:3], v53, v[10:13], s[2:3] offset:32 th:TH_ATOMIC_RETURN scope:SCOPE_SYS
	s_wait_loadcnt 0x0
	v_cmpx_ne_u64_e64 v[2:3], v[12:13]
	s_cbranch_execz .LBB3_203
; %bb.201:                              ;   in Loop: Header=BB3_3 Depth=1
	s_mov_b32 s7, 0
.LBB3_202:                              ;   Parent Loop BB3_3 Depth=1
                                        ; =>  This Inner Loop Header: Depth=2
	v_dual_mov_b32 v0, s4 :: v_dual_mov_b32 v1, s5
	s_sleep 1
	global_store_b64 v[8:9], v[2:3], off
	global_wb scope:SCOPE_SYS
	s_wait_storecnt 0x0
	s_wait_xcnt 0x0
	global_atomic_cmpswap_b64 v[0:1], v53, v[0:3], s[2:3] offset:32 th:TH_ATOMIC_RETURN scope:SCOPE_SYS
	s_wait_loadcnt 0x0
	v_cmp_eq_u64_e32 vcc_lo, v[0:1], v[2:3]
	v_mov_b64_e32 v[2:3], v[0:1]
	s_or_b32 s7, vcc_lo, s7
	s_delay_alu instid0(SALU_CYCLE_1)
	s_and_not1_b32 exec_lo, exec_lo, s7
	s_cbranch_execnz .LBB3_202
.LBB3_203:                              ;   in Loop: Header=BB3_3 Depth=1
	s_or_b32 exec_lo, exec_lo, s6
	global_load_b64 v[0:1], v53, s[2:3] offset:16
	s_mov_b32 s7, exec_lo
	s_mov_b32 s6, exec_lo
	v_mbcnt_lo_u32_b32 v2, s7, 0
	s_wait_xcnt 0x0
	s_delay_alu instid0(VALU_DEP_1)
	v_cmpx_eq_u32_e32 0, v2
	s_cbranch_execz .LBB3_205
; %bb.204:                              ;   in Loop: Header=BB3_3 Depth=1
	s_bcnt1_i32_b32 s7, s7
	s_delay_alu instid0(SALU_CYCLE_1)
	v_mov_b32_e32 v52, s7
	global_wb scope:SCOPE_SYS
	s_wait_loadcnt 0x0
	s_wait_storecnt 0x0
	global_atomic_add_u64 v[0:1], v[52:53], off offset:8 scope:SCOPE_SYS
.LBB3_205:                              ;   in Loop: Header=BB3_3 Depth=1
	s_wait_xcnt 0x0
	s_or_b32 exec_lo, exec_lo, s6
	s_wait_loadcnt 0x0
	global_load_b64 v[2:3], v[0:1], off offset:16
	s_wait_loadcnt 0x0
	v_cmp_eq_u64_e32 vcc_lo, 0, v[2:3]
	s_cbranch_vccnz .LBB3_207
; %bb.206:                              ;   in Loop: Header=BB3_3 Depth=1
	global_load_b32 v52, v[0:1], off offset:24
	s_wait_loadcnt 0x0
	v_readfirstlane_b32 s6, v52
	global_wb scope:SCOPE_SYS
	s_wait_storecnt 0x0
	s_wait_xcnt 0x0
	global_store_b64 v[2:3], v[52:53], off scope:SCOPE_SYS
	s_and_b32 m0, s6, 0xffffff
	s_sendmsg sendmsg(MSG_INTERRUPT)
.LBB3_207:                              ;   in Loop: Header=BB3_3 Depth=1
	s_wait_xcnt 0x0
	s_or_b32 exec_lo, exec_lo, s1
	v_mov_b32_e32 v23, v53
	s_delay_alu instid0(VALU_DEP_1)
	v_add_nc_u64_e32 v[0:1], v[6:7], v[22:23]
	s_branch .LBB3_211
.LBB3_208:                              ;   in Loop: Header=BB3_211 Depth=2
	s_wait_xcnt 0x0
	s_or_b32 exec_lo, exec_lo, s1
	s_delay_alu instid0(VALU_DEP_1)
	v_readfirstlane_b32 s1, v2
	s_cmp_eq_u32 s1, 0
	s_cbranch_scc1 .LBB3_210
; %bb.209:                              ;   in Loop: Header=BB3_211 Depth=2
	s_sleep 1
	s_cbranch_execnz .LBB3_211
	s_branch .LBB3_213
.LBB3_210:                              ;   in Loop: Header=BB3_3 Depth=1
	s_branch .LBB3_213
.LBB3_211:                              ;   Parent Loop BB3_3 Depth=1
                                        ; =>  This Inner Loop Header: Depth=2
	v_mov_b32_e32 v2, 1
	s_and_saveexec_b32 s1, s0
	s_cbranch_execz .LBB3_208
; %bb.212:                              ;   in Loop: Header=BB3_211 Depth=2
	global_load_b32 v2, v[4:5], off offset:20 scope:SCOPE_SYS
	s_wait_loadcnt 0x0
	global_inv scope:SCOPE_SYS
	v_and_b32_e32 v2, 1, v2
	s_branch .LBB3_208
.LBB3_213:                              ;   in Loop: Header=BB3_3 Depth=1
	global_load_b64 v[0:1], v[0:1], off
	s_wait_xcnt 0x0
	s_and_saveexec_b32 s6, s0
	s_cbranch_execz .LBB3_217
; %bb.214:                              ;   in Loop: Header=BB3_3 Depth=1
	s_clause 0x2
	global_load_b64 v[2:3], v53, s[2:3] offset:40
	global_load_b64 v[10:11], v53, s[2:3] offset:24 scope:SCOPE_SYS
	global_load_b64 v[4:5], v53, s[2:3]
	s_wait_loadcnt 0x2
	v_readfirstlane_b32 s8, v2
	v_readfirstlane_b32 s9, v3
	s_add_nc_u64 s[0:1], s[8:9], 1
	s_delay_alu instid0(SALU_CYCLE_1) | instskip(NEXT) | instid1(SALU_CYCLE_1)
	s_add_nc_u64 s[4:5], s[0:1], s[4:5]
	s_cmp_eq_u64 s[4:5], 0
	s_cselect_b32 s1, s1, s5
	s_cselect_b32 s0, s0, s4
	s_delay_alu instid0(SALU_CYCLE_1) | instskip(SKIP_1) | instid1(SALU_CYCLE_1)
	v_dual_mov_b32 v9, s1 :: v_dual_mov_b32 v8, s0
	s_and_b64 s[4:5], s[0:1], s[8:9]
	s_mul_u64 s[4:5], s[4:5], 24
	s_wait_loadcnt 0x0
	v_add_nc_u64_e32 v[6:7], s[4:5], v[4:5]
	global_store_b64 v[6:7], v[10:11], off
	global_wb scope:SCOPE_SYS
	s_wait_storecnt 0x0
	s_wait_xcnt 0x0
	global_atomic_cmpswap_b64 v[4:5], v53, v[8:11], s[2:3] offset:24 th:TH_ATOMIC_RETURN scope:SCOPE_SYS
	s_wait_loadcnt 0x0
	v_cmp_ne_u64_e32 vcc_lo, v[4:5], v[10:11]
	s_and_b32 exec_lo, exec_lo, vcc_lo
	s_cbranch_execz .LBB3_217
; %bb.215:                              ;   in Loop: Header=BB3_3 Depth=1
	s_mov_b32 s4, 0
.LBB3_216:                              ;   Parent Loop BB3_3 Depth=1
                                        ; =>  This Inner Loop Header: Depth=2
	v_dual_mov_b32 v2, s0 :: v_dual_mov_b32 v3, s1
	s_sleep 1
	global_store_b64 v[6:7], v[4:5], off
	global_wb scope:SCOPE_SYS
	s_wait_storecnt 0x0
	s_wait_xcnt 0x0
	global_atomic_cmpswap_b64 v[2:3], v53, v[2:5], s[2:3] offset:24 th:TH_ATOMIC_RETURN scope:SCOPE_SYS
	s_wait_loadcnt 0x0
	v_cmp_eq_u64_e32 vcc_lo, v[2:3], v[4:5]
	v_mov_b64_e32 v[4:5], v[2:3]
	s_or_b32 s4, vcc_lo, s4
	s_delay_alu instid0(SALU_CYCLE_1)
	s_and_not1_b32 exec_lo, exec_lo, s4
	s_cbranch_execnz .LBB3_216
.LBB3_217:                              ;   in Loop: Header=BB3_3 Depth=1
	s_or_b32 exec_lo, exec_lo, s6
	s_delay_alu instid0(SALU_CYCLE_1)
	s_and_b32 vcc_lo, exec_lo, s61
	s_cbranch_vccz .LBB3_378
; %bb.218:                              ;   in Loop: Header=BB3_3 Depth=1
	s_wait_loadcnt 0x0
	v_dual_mov_b32 v3, v1 :: v_dual_bitop2_b32 v24, 2, v0 bitop3:0x40
	v_and_b32_e32 v2, -3, v0
	s_mov_b64 s[4:5], 44
	s_mov_b64 s[6:7], s[24:25]
	s_branch .LBB3_220
.LBB3_219:                              ;   in Loop: Header=BB3_220 Depth=2
	s_or_b32 exec_lo, exec_lo, s12
	s_sub_nc_u64 s[4:5], s[4:5], s[8:9]
	s_add_nc_u64 s[6:7], s[6:7], s[8:9]
	s_cmp_lg_u64 s[4:5], 0
	s_cbranch_scc0 .LBB3_295
.LBB3_220:                              ;   Parent Loop BB3_3 Depth=1
                                        ; =>  This Loop Header: Depth=2
                                        ;       Child Loop BB3_223 Depth 3
                                        ;       Child Loop BB3_230 Depth 3
	;; [unrolled: 1-line block ×11, first 2 shown]
	v_min_u64 v[4:5], s[4:5], 56
	v_cmp_gt_u64_e64 s0, s[4:5], 7
	s_and_b32 vcc_lo, exec_lo, s0
	v_readfirstlane_b32 s8, v4
	v_readfirstlane_b32 s9, v5
	s_cbranch_vccnz .LBB3_225
; %bb.221:                              ;   in Loop: Header=BB3_220 Depth=2
	v_mov_b64_e32 v[4:5], 0
	s_cmp_eq_u64 s[4:5], 0
	s_cbranch_scc1 .LBB3_224
; %bb.222:                              ;   in Loop: Header=BB3_220 Depth=2
	s_mov_b64 s[0:1], 0
	s_mov_b64 s[10:11], 0
.LBB3_223:                              ;   Parent Loop BB3_3 Depth=1
                                        ;     Parent Loop BB3_220 Depth=2
                                        ; =>    This Inner Loop Header: Depth=3
	s_wait_xcnt 0x0
	s_add_nc_u64 s[12:13], s[6:7], s[10:11]
	s_add_nc_u64 s[10:11], s[10:11], 1
	global_load_u8 v6, v53, s[12:13]
	s_cmp_lg_u32 s8, s10
	s_wait_loadcnt 0x0
	v_and_b32_e32 v52, 0xffff, v6
	s_delay_alu instid0(VALU_DEP_1) | instskip(SKIP_1) | instid1(VALU_DEP_1)
	v_lshlrev_b64_e32 v[6:7], s0, v[52:53]
	s_add_nc_u64 s[0:1], s[0:1], 8
	v_or_b32_e32 v4, v6, v4
	s_delay_alu instid0(VALU_DEP_2)
	v_or_b32_e32 v5, v7, v5
	s_cbranch_scc1 .LBB3_223
.LBB3_224:                              ;   in Loop: Header=BB3_220 Depth=2
	s_mov_b64 s[0:1], s[6:7]
	s_mov_b32 s17, 0
	s_cbranch_execz .LBB3_226
	s_branch .LBB3_227
.LBB3_225:                              ;   in Loop: Header=BB3_220 Depth=2
	s_add_nc_u64 s[0:1], s[6:7], 8
	s_mov_b32 s17, 0
.LBB3_226:                              ;   in Loop: Header=BB3_220 Depth=2
	global_load_b64 v[4:5], v53, s[6:7]
	s_add_co_i32 s17, s8, -8
.LBB3_227:                              ;   in Loop: Header=BB3_220 Depth=2
	s_delay_alu instid0(SALU_CYCLE_1)
	s_cmp_gt_u32 s17, 7
	s_cbranch_scc1 .LBB3_232
; %bb.228:                              ;   in Loop: Header=BB3_220 Depth=2
	v_mov_b64_e32 v[6:7], 0
	s_cmp_eq_u32 s17, 0
	s_cbranch_scc1 .LBB3_231
; %bb.229:                              ;   in Loop: Header=BB3_220 Depth=2
	s_mov_b64 s[10:11], 0
	s_wait_xcnt 0x0
	s_mov_b64 s[12:13], 0
.LBB3_230:                              ;   Parent Loop BB3_3 Depth=1
                                        ;     Parent Loop BB3_220 Depth=2
                                        ; =>    This Inner Loop Header: Depth=3
	s_wait_xcnt 0x0
	s_add_nc_u64 s[18:19], s[0:1], s[12:13]
	s_add_nc_u64 s[12:13], s[12:13], 1
	global_load_u8 v8, v53, s[18:19]
	s_cmp_lg_u32 s17, s12
	s_wait_loadcnt 0x0
	v_and_b32_e32 v52, 0xffff, v8
	s_delay_alu instid0(VALU_DEP_1) | instskip(SKIP_1) | instid1(VALU_DEP_1)
	v_lshlrev_b64_e32 v[8:9], s10, v[52:53]
	s_add_nc_u64 s[10:11], s[10:11], 8
	v_or_b32_e32 v6, v8, v6
	s_delay_alu instid0(VALU_DEP_2)
	v_or_b32_e32 v7, v9, v7
	s_cbranch_scc1 .LBB3_230
.LBB3_231:                              ;   in Loop: Header=BB3_220 Depth=2
	s_wait_xcnt 0x0
	s_mov_b64 s[10:11], s[0:1]
	s_mov_b32 s18, 0
	s_cbranch_execz .LBB3_233
	s_branch .LBB3_234
.LBB3_232:                              ;   in Loop: Header=BB3_220 Depth=2
	s_add_nc_u64 s[10:11], s[0:1], 8
	s_wait_xcnt 0x0
                                        ; implicit-def: $vgpr6_vgpr7
	s_mov_b32 s18, 0
.LBB3_233:                              ;   in Loop: Header=BB3_220 Depth=2
	global_load_b64 v[6:7], v53, s[0:1]
	s_add_co_i32 s18, s17, -8
.LBB3_234:                              ;   in Loop: Header=BB3_220 Depth=2
	s_delay_alu instid0(SALU_CYCLE_1)
	s_cmp_gt_u32 s18, 7
	s_cbranch_scc1 .LBB3_239
; %bb.235:                              ;   in Loop: Header=BB3_220 Depth=2
	v_mov_b64_e32 v[8:9], 0
	s_cmp_eq_u32 s18, 0
	s_cbranch_scc1 .LBB3_238
; %bb.236:                              ;   in Loop: Header=BB3_220 Depth=2
	s_wait_xcnt 0x0
	s_mov_b64 s[0:1], 0
	s_mov_b64 s[12:13], 0
.LBB3_237:                              ;   Parent Loop BB3_3 Depth=1
                                        ;     Parent Loop BB3_220 Depth=2
                                        ; =>    This Inner Loop Header: Depth=3
	s_wait_xcnt 0x0
	s_add_nc_u64 s[56:57], s[10:11], s[12:13]
	s_add_nc_u64 s[12:13], s[12:13], 1
	global_load_u8 v10, v53, s[56:57]
	s_cmp_lg_u32 s18, s12
	s_wait_loadcnt 0x0
	v_and_b32_e32 v52, 0xffff, v10
	s_delay_alu instid0(VALU_DEP_1) | instskip(SKIP_1) | instid1(VALU_DEP_1)
	v_lshlrev_b64_e32 v[10:11], s0, v[52:53]
	s_add_nc_u64 s[0:1], s[0:1], 8
	v_or_b32_e32 v8, v10, v8
	s_delay_alu instid0(VALU_DEP_2)
	v_or_b32_e32 v9, v11, v9
	s_cbranch_scc1 .LBB3_237
.LBB3_238:                              ;   in Loop: Header=BB3_220 Depth=2
	s_wait_xcnt 0x0
	s_mov_b64 s[0:1], s[10:11]
	s_mov_b32 s17, 0
	s_cbranch_execz .LBB3_240
	s_branch .LBB3_241
.LBB3_239:                              ;   in Loop: Header=BB3_220 Depth=2
	s_wait_xcnt 0x0
	s_add_nc_u64 s[0:1], s[10:11], 8
	s_mov_b32 s17, 0
.LBB3_240:                              ;   in Loop: Header=BB3_220 Depth=2
	global_load_b64 v[8:9], v53, s[10:11]
	s_add_co_i32 s17, s18, -8
.LBB3_241:                              ;   in Loop: Header=BB3_220 Depth=2
	s_delay_alu instid0(SALU_CYCLE_1)
	s_cmp_gt_u32 s17, 7
	s_cbranch_scc1 .LBB3_246
; %bb.242:                              ;   in Loop: Header=BB3_220 Depth=2
	v_mov_b64_e32 v[10:11], 0
	s_cmp_eq_u32 s17, 0
	s_cbranch_scc1 .LBB3_245
; %bb.243:                              ;   in Loop: Header=BB3_220 Depth=2
	s_wait_xcnt 0x0
	s_mov_b64 s[10:11], 0
	s_mov_b64 s[12:13], 0
.LBB3_244:                              ;   Parent Loop BB3_3 Depth=1
                                        ;     Parent Loop BB3_220 Depth=2
                                        ; =>    This Inner Loop Header: Depth=3
	s_wait_xcnt 0x0
	s_add_nc_u64 s[18:19], s[0:1], s[12:13]
	s_add_nc_u64 s[12:13], s[12:13], 1
	global_load_u8 v12, v53, s[18:19]
	s_cmp_lg_u32 s17, s12
	s_wait_loadcnt 0x0
	v_and_b32_e32 v52, 0xffff, v12
	s_delay_alu instid0(VALU_DEP_1) | instskip(SKIP_1) | instid1(VALU_DEP_1)
	v_lshlrev_b64_e32 v[12:13], s10, v[52:53]
	s_add_nc_u64 s[10:11], s[10:11], 8
	v_or_b32_e32 v10, v12, v10
	s_delay_alu instid0(VALU_DEP_2)
	v_or_b32_e32 v11, v13, v11
	s_cbranch_scc1 .LBB3_244
.LBB3_245:                              ;   in Loop: Header=BB3_220 Depth=2
	s_wait_xcnt 0x0
	s_mov_b64 s[10:11], s[0:1]
	s_mov_b32 s18, 0
	s_cbranch_execz .LBB3_247
	s_branch .LBB3_248
.LBB3_246:                              ;   in Loop: Header=BB3_220 Depth=2
	s_wait_xcnt 0x0
	s_add_nc_u64 s[10:11], s[0:1], 8
                                        ; implicit-def: $vgpr10_vgpr11
	s_mov_b32 s18, 0
.LBB3_247:                              ;   in Loop: Header=BB3_220 Depth=2
	global_load_b64 v[10:11], v53, s[0:1]
	s_add_co_i32 s18, s17, -8
.LBB3_248:                              ;   in Loop: Header=BB3_220 Depth=2
	s_delay_alu instid0(SALU_CYCLE_1)
	s_cmp_gt_u32 s18, 7
	s_cbranch_scc1 .LBB3_253
; %bb.249:                              ;   in Loop: Header=BB3_220 Depth=2
	v_mov_b64_e32 v[12:13], 0
	s_cmp_eq_u32 s18, 0
	s_cbranch_scc1 .LBB3_252
; %bb.250:                              ;   in Loop: Header=BB3_220 Depth=2
	s_wait_xcnt 0x0
	s_mov_b64 s[0:1], 0
	s_mov_b64 s[12:13], 0
.LBB3_251:                              ;   Parent Loop BB3_3 Depth=1
                                        ;     Parent Loop BB3_220 Depth=2
                                        ; =>    This Inner Loop Header: Depth=3
	s_wait_xcnt 0x0
	s_add_nc_u64 s[56:57], s[10:11], s[12:13]
	s_add_nc_u64 s[12:13], s[12:13], 1
	global_load_u8 v14, v53, s[56:57]
	s_cmp_lg_u32 s18, s12
	s_wait_loadcnt 0x0
	v_and_b32_e32 v52, 0xffff, v14
	s_delay_alu instid0(VALU_DEP_1) | instskip(SKIP_1) | instid1(VALU_DEP_1)
	v_lshlrev_b64_e32 v[14:15], s0, v[52:53]
	s_add_nc_u64 s[0:1], s[0:1], 8
	v_or_b32_e32 v12, v14, v12
	s_delay_alu instid0(VALU_DEP_2)
	v_or_b32_e32 v13, v15, v13
	s_cbranch_scc1 .LBB3_251
.LBB3_252:                              ;   in Loop: Header=BB3_220 Depth=2
	s_wait_xcnt 0x0
	s_mov_b64 s[0:1], s[10:11]
	s_mov_b32 s17, 0
	s_cbranch_execz .LBB3_254
	s_branch .LBB3_255
.LBB3_253:                              ;   in Loop: Header=BB3_220 Depth=2
	s_wait_xcnt 0x0
	s_add_nc_u64 s[0:1], s[10:11], 8
	s_mov_b32 s17, 0
.LBB3_254:                              ;   in Loop: Header=BB3_220 Depth=2
	global_load_b64 v[12:13], v53, s[10:11]
	s_add_co_i32 s17, s18, -8
.LBB3_255:                              ;   in Loop: Header=BB3_220 Depth=2
	s_delay_alu instid0(SALU_CYCLE_1)
	s_cmp_gt_u32 s17, 7
	s_cbranch_scc1 .LBB3_260
; %bb.256:                              ;   in Loop: Header=BB3_220 Depth=2
	v_mov_b64_e32 v[14:15], 0
	s_cmp_eq_u32 s17, 0
	s_cbranch_scc1 .LBB3_259
; %bb.257:                              ;   in Loop: Header=BB3_220 Depth=2
	s_wait_xcnt 0x0
	s_mov_b64 s[10:11], 0
	s_mov_b64 s[12:13], 0
.LBB3_258:                              ;   Parent Loop BB3_3 Depth=1
                                        ;     Parent Loop BB3_220 Depth=2
                                        ; =>    This Inner Loop Header: Depth=3
	s_wait_xcnt 0x0
	s_add_nc_u64 s[18:19], s[0:1], s[12:13]
	s_add_nc_u64 s[12:13], s[12:13], 1
	global_load_u8 v16, v53, s[18:19]
	s_cmp_lg_u32 s17, s12
	s_wait_loadcnt 0x0
	v_and_b32_e32 v52, 0xffff, v16
	s_delay_alu instid0(VALU_DEP_1) | instskip(SKIP_1) | instid1(VALU_DEP_1)
	v_lshlrev_b64_e32 v[16:17], s10, v[52:53]
	s_add_nc_u64 s[10:11], s[10:11], 8
	v_or_b32_e32 v14, v16, v14
	s_delay_alu instid0(VALU_DEP_2)
	v_or_b32_e32 v15, v17, v15
	s_cbranch_scc1 .LBB3_258
.LBB3_259:                              ;   in Loop: Header=BB3_220 Depth=2
	s_wait_xcnt 0x0
	s_mov_b64 s[10:11], s[0:1]
	s_mov_b32 s18, 0
	s_cbranch_execz .LBB3_261
	s_branch .LBB3_262
.LBB3_260:                              ;   in Loop: Header=BB3_220 Depth=2
	s_wait_xcnt 0x0
	s_add_nc_u64 s[10:11], s[0:1], 8
                                        ; implicit-def: $vgpr14_vgpr15
	s_mov_b32 s18, 0
.LBB3_261:                              ;   in Loop: Header=BB3_220 Depth=2
	global_load_b64 v[14:15], v53, s[0:1]
	s_add_co_i32 s18, s17, -8
.LBB3_262:                              ;   in Loop: Header=BB3_220 Depth=2
	s_delay_alu instid0(SALU_CYCLE_1)
	s_cmp_gt_u32 s18, 7
	s_cbranch_scc1 .LBB3_267
; %bb.263:                              ;   in Loop: Header=BB3_220 Depth=2
	v_mov_b64_e32 v[16:17], 0
	s_cmp_eq_u32 s18, 0
	s_cbranch_scc1 .LBB3_266
; %bb.264:                              ;   in Loop: Header=BB3_220 Depth=2
	s_wait_xcnt 0x0
	s_mov_b64 s[0:1], 0
	s_mov_b64 s[12:13], s[10:11]
.LBB3_265:                              ;   Parent Loop BB3_3 Depth=1
                                        ;     Parent Loop BB3_220 Depth=2
                                        ; =>    This Inner Loop Header: Depth=3
	global_load_u8 v18, v53, s[12:13]
	s_add_co_i32 s18, s18, -1
	s_wait_xcnt 0x0
	s_add_nc_u64 s[12:13], s[12:13], 1
	s_cmp_lg_u32 s18, 0
	s_wait_loadcnt 0x0
	v_and_b32_e32 v52, 0xffff, v18
	s_delay_alu instid0(VALU_DEP_1) | instskip(SKIP_1) | instid1(VALU_DEP_1)
	v_lshlrev_b64_e32 v[18:19], s0, v[52:53]
	s_add_nc_u64 s[0:1], s[0:1], 8
	v_or_b32_e32 v16, v18, v16
	s_delay_alu instid0(VALU_DEP_2)
	v_or_b32_e32 v17, v19, v17
	s_cbranch_scc1 .LBB3_265
.LBB3_266:                              ;   in Loop: Header=BB3_220 Depth=2
	s_wait_xcnt 0x0
	s_cbranch_execz .LBB3_268
	s_branch .LBB3_269
.LBB3_267:                              ;   in Loop: Header=BB3_220 Depth=2
	s_wait_xcnt 0x0
.LBB3_268:                              ;   in Loop: Header=BB3_220 Depth=2
	global_load_b64 v[16:17], v53, s[10:11]
.LBB3_269:                              ;   in Loop: Header=BB3_220 Depth=2
	v_readfirstlane_b32 s0, v80
	v_mov_b64_e32 v[26:27], 0
	s_delay_alu instid0(VALU_DEP_2)
	v_cmp_eq_u32_e64 s0, s0, v80
	s_wait_xcnt 0x0
	s_and_saveexec_b32 s1, s0
	s_cbranch_execz .LBB3_275
; %bb.270:                              ;   in Loop: Header=BB3_220 Depth=2
	global_load_b64 v[20:21], v53, s[2:3] offset:24 scope:SCOPE_SYS
	s_wait_loadcnt 0x0
	global_inv scope:SCOPE_SYS
	s_clause 0x1
	global_load_b64 v[18:19], v53, s[2:3] offset:40
	global_load_b64 v[26:27], v53, s[2:3]
	s_mov_b32 s10, exec_lo
	s_wait_loadcnt 0x1
	v_and_b32_e32 v18, v18, v20
	v_and_b32_e32 v19, v19, v21
	s_delay_alu instid0(VALU_DEP_1) | instskip(SKIP_1) | instid1(VALU_DEP_1)
	v_mul_u64_e32 v[18:19], 24, v[18:19]
	s_wait_loadcnt 0x0
	v_add_nc_u64_e32 v[18:19], v[26:27], v[18:19]
	global_load_b64 v[18:19], v[18:19], off scope:SCOPE_SYS
	s_wait_xcnt 0x0
	s_wait_loadcnt 0x0
	global_atomic_cmpswap_b64 v[26:27], v53, v[18:21], s[2:3] offset:24 th:TH_ATOMIC_RETURN scope:SCOPE_SYS
	s_wait_loadcnt 0x0
	global_inv scope:SCOPE_SYS
	s_wait_xcnt 0x0
	v_cmpx_ne_u64_e64 v[26:27], v[20:21]
	s_cbranch_execz .LBB3_274
; %bb.271:                              ;   in Loop: Header=BB3_220 Depth=2
	s_mov_b32 s11, 0
.LBB3_272:                              ;   Parent Loop BB3_3 Depth=1
                                        ;     Parent Loop BB3_220 Depth=2
                                        ; =>    This Inner Loop Header: Depth=3
	s_sleep 1
	s_clause 0x1
	global_load_b64 v[18:19], v53, s[2:3] offset:40
	global_load_b64 v[28:29], v53, s[2:3]
	v_mov_b64_e32 v[20:21], v[26:27]
	s_wait_loadcnt 0x1
	s_delay_alu instid0(VALU_DEP_1) | instskip(SKIP_1) | instid1(VALU_DEP_1)
	v_and_b32_e32 v18, v18, v20
	s_wait_loadcnt 0x0
	v_mad_nc_u64_u32 v[26:27], v18, 24, v[28:29]
	s_delay_alu instid0(VALU_DEP_3) | instskip(NEXT) | instid1(VALU_DEP_1)
	v_and_b32_e32 v18, v19, v21
	v_mad_u32 v27, v18, 24, v27
	global_load_b64 v[18:19], v[26:27], off scope:SCOPE_SYS
	s_wait_xcnt 0x0
	s_wait_loadcnt 0x0
	global_atomic_cmpswap_b64 v[26:27], v53, v[18:21], s[2:3] offset:24 th:TH_ATOMIC_RETURN scope:SCOPE_SYS
	s_wait_loadcnt 0x0
	global_inv scope:SCOPE_SYS
	v_cmp_eq_u64_e32 vcc_lo, v[26:27], v[20:21]
	s_or_b32 s11, vcc_lo, s11
	s_wait_xcnt 0x0
	s_and_not1_b32 exec_lo, exec_lo, s11
	s_cbranch_execnz .LBB3_272
; %bb.273:                              ;   in Loop: Header=BB3_220 Depth=2
	s_or_b32 exec_lo, exec_lo, s11
.LBB3_274:                              ;   in Loop: Header=BB3_220 Depth=2
	s_delay_alu instid0(SALU_CYCLE_1)
	s_or_b32 exec_lo, exec_lo, s10
.LBB3_275:                              ;   in Loop: Header=BB3_220 Depth=2
	s_delay_alu instid0(SALU_CYCLE_1)
	s_or_b32 exec_lo, exec_lo, s1
	s_clause 0x1
	global_load_b64 v[28:29], v53, s[2:3] offset:40
	global_load_b128 v[18:21], v53, s[2:3]
	v_readfirstlane_b32 s10, v26
	v_readfirstlane_b32 s11, v27
	s_mov_b32 s1, exec_lo
	s_wait_loadcnt 0x1
	v_and_b32_e32 v28, s10, v28
	v_and_b32_e32 v29, s11, v29
	s_delay_alu instid0(VALU_DEP_1) | instskip(SKIP_1) | instid1(VALU_DEP_1)
	v_mul_u64_e32 v[26:27], 24, v[28:29]
	s_wait_loadcnt 0x0
	v_add_nc_u64_e32 v[26:27], v[18:19], v[26:27]
	s_wait_xcnt 0x0
	s_and_saveexec_b32 s12, s0
	s_cbranch_execz .LBB3_277
; %bb.276:                              ;   in Loop: Header=BB3_220 Depth=2
	v_mov_b32_e32 v52, s1
	global_store_b128 v[26:27], v[52:55], off offset:8
.LBB3_277:                              ;   in Loop: Header=BB3_220 Depth=2
	s_wait_xcnt 0x0
	s_or_b32 exec_lo, exec_lo, s12
	v_cmp_lt_u64_e64 vcc_lo, s[4:5], 57
	v_lshlrev_b64_e32 v[28:29], 12, v[28:29]
	v_and_b32_e32 v2, 0xffffff1f, v2
	s_lshl_b32 s1, s8, 2
	s_delay_alu instid0(SALU_CYCLE_1) | instskip(SKIP_1) | instid1(VALU_DEP_3)
	s_add_co_i32 s1, s1, 28
	v_cndmask_b32_e32 v23, 0, v24, vcc_lo
	v_add_nc_u64_e32 v[20:21], v[20:21], v[28:29]
	s_delay_alu instid0(VALU_DEP_2) | instskip(NEXT) | instid1(VALU_DEP_2)
	v_or_b32_e32 v2, v2, v23
	v_readfirstlane_b32 s12, v20
	s_delay_alu instid0(VALU_DEP_3) | instskip(NEXT) | instid1(VALU_DEP_3)
	v_readfirstlane_b32 s13, v21
	v_and_or_b32 v2, 0x1e0, s1, v2
	s_clause 0x3
	global_store_b128 v22, v[2:5], s[12:13]
	global_store_b128 v22, v[6:9], s[12:13] offset:16
	global_store_b128 v22, v[10:13], s[12:13] offset:32
	global_store_b128 v22, v[14:17], s[12:13] offset:48
	s_wait_xcnt 0x0
	s_and_saveexec_b32 s1, s0
	s_cbranch_execz .LBB3_285
; %bb.278:                              ;   in Loop: Header=BB3_220 Depth=2
	s_clause 0x1
	global_load_b64 v[10:11], v53, s[2:3] offset:32 scope:SCOPE_SYS
	global_load_b64 v[2:3], v53, s[2:3] offset:40
	s_mov_b32 s12, exec_lo
	v_dual_mov_b32 v8, s10 :: v_dual_mov_b32 v9, s11
	s_wait_loadcnt 0x0
	v_and_b32_e32 v3, s11, v3
	v_and_b32_e32 v2, s10, v2
	s_delay_alu instid0(VALU_DEP_1) | instskip(NEXT) | instid1(VALU_DEP_1)
	v_mul_u64_e32 v[2:3], 24, v[2:3]
	v_add_nc_u64_e32 v[6:7], v[18:19], v[2:3]
	global_store_b64 v[6:7], v[10:11], off
	global_wb scope:SCOPE_SYS
	s_wait_storecnt 0x0
	s_wait_xcnt 0x0
	global_atomic_cmpswap_b64 v[4:5], v53, v[8:11], s[2:3] offset:32 th:TH_ATOMIC_RETURN scope:SCOPE_SYS
	s_wait_loadcnt 0x0
	v_cmpx_ne_u64_e64 v[4:5], v[10:11]
	s_cbranch_execz .LBB3_281
; %bb.279:                              ;   in Loop: Header=BB3_220 Depth=2
	s_mov_b32 s13, 0
.LBB3_280:                              ;   Parent Loop BB3_3 Depth=1
                                        ;     Parent Loop BB3_220 Depth=2
                                        ; =>    This Inner Loop Header: Depth=3
	v_dual_mov_b32 v2, s10 :: v_dual_mov_b32 v3, s11
	s_sleep 1
	global_store_b64 v[6:7], v[4:5], off
	global_wb scope:SCOPE_SYS
	s_wait_storecnt 0x0
	s_wait_xcnt 0x0
	global_atomic_cmpswap_b64 v[2:3], v53, v[2:5], s[2:3] offset:32 th:TH_ATOMIC_RETURN scope:SCOPE_SYS
	s_wait_loadcnt 0x0
	v_cmp_eq_u64_e32 vcc_lo, v[2:3], v[4:5]
	v_mov_b64_e32 v[4:5], v[2:3]
	s_or_b32 s13, vcc_lo, s13
	s_delay_alu instid0(SALU_CYCLE_1)
	s_and_not1_b32 exec_lo, exec_lo, s13
	s_cbranch_execnz .LBB3_280
.LBB3_281:                              ;   in Loop: Header=BB3_220 Depth=2
	s_or_b32 exec_lo, exec_lo, s12
	global_load_b64 v[2:3], v53, s[2:3] offset:16
	s_mov_b32 s13, exec_lo
	s_mov_b32 s12, exec_lo
	v_mbcnt_lo_u32_b32 v4, s13, 0
	s_wait_xcnt 0x0
	s_delay_alu instid0(VALU_DEP_1)
	v_cmpx_eq_u32_e32 0, v4
	s_cbranch_execz .LBB3_283
; %bb.282:                              ;   in Loop: Header=BB3_220 Depth=2
	s_bcnt1_i32_b32 s13, s13
	s_delay_alu instid0(SALU_CYCLE_1)
	v_mov_b32_e32 v52, s13
	global_wb scope:SCOPE_SYS
	s_wait_loadcnt 0x0
	s_wait_storecnt 0x0
	global_atomic_add_u64 v[2:3], v[52:53], off offset:8 scope:SCOPE_SYS
.LBB3_283:                              ;   in Loop: Header=BB3_220 Depth=2
	s_wait_xcnt 0x0
	s_or_b32 exec_lo, exec_lo, s12
	s_wait_loadcnt 0x0
	global_load_b64 v[4:5], v[2:3], off offset:16
	s_wait_loadcnt 0x0
	v_cmp_eq_u64_e32 vcc_lo, 0, v[4:5]
	s_cbranch_vccnz .LBB3_285
; %bb.284:                              ;   in Loop: Header=BB3_220 Depth=2
	global_load_b32 v52, v[2:3], off offset:24
	s_wait_loadcnt 0x0
	v_readfirstlane_b32 s12, v52
	global_wb scope:SCOPE_SYS
	s_wait_storecnt 0x0
	s_wait_xcnt 0x0
	global_store_b64 v[4:5], v[52:53], off scope:SCOPE_SYS
	s_and_b32 m0, s12, 0xffffff
	s_sendmsg sendmsg(MSG_INTERRUPT)
.LBB3_285:                              ;   in Loop: Header=BB3_220 Depth=2
	s_wait_xcnt 0x0
	s_or_b32 exec_lo, exec_lo, s1
	v_mov_b32_e32 v23, v53
	s_delay_alu instid0(VALU_DEP_1)
	v_add_nc_u64_e32 v[2:3], v[20:21], v[22:23]
	s_branch .LBB3_289
.LBB3_286:                              ;   in Loop: Header=BB3_289 Depth=3
	s_wait_xcnt 0x0
	s_or_b32 exec_lo, exec_lo, s1
	s_delay_alu instid0(VALU_DEP_1)
	v_readfirstlane_b32 s1, v4
	s_cmp_eq_u32 s1, 0
	s_cbranch_scc1 .LBB3_288
; %bb.287:                              ;   in Loop: Header=BB3_289 Depth=3
	s_sleep 1
	s_cbranch_execnz .LBB3_289
	s_branch .LBB3_291
.LBB3_288:                              ;   in Loop: Header=BB3_220 Depth=2
	s_branch .LBB3_291
.LBB3_289:                              ;   Parent Loop BB3_3 Depth=1
                                        ;     Parent Loop BB3_220 Depth=2
                                        ; =>    This Inner Loop Header: Depth=3
	v_mov_b32_e32 v4, 1
	s_and_saveexec_b32 s1, s0
	s_cbranch_execz .LBB3_286
; %bb.290:                              ;   in Loop: Header=BB3_289 Depth=3
	global_load_b32 v4, v[26:27], off offset:20 scope:SCOPE_SYS
	s_wait_loadcnt 0x0
	global_inv scope:SCOPE_SYS
	v_and_b32_e32 v4, 1, v4
	s_branch .LBB3_286
.LBB3_291:                              ;   in Loop: Header=BB3_220 Depth=2
	global_load_b64 v[2:3], v[2:3], off
	s_wait_xcnt 0x0
	s_and_saveexec_b32 s12, s0
	s_cbranch_execz .LBB3_219
; %bb.292:                              ;   in Loop: Header=BB3_220 Depth=2
	s_clause 0x2
	global_load_b64 v[4:5], v53, s[2:3] offset:40
	global_load_b64 v[12:13], v53, s[2:3] offset:24 scope:SCOPE_SYS
	global_load_b64 v[6:7], v53, s[2:3]
	s_wait_loadcnt 0x2
	v_readfirstlane_b32 s18, v4
	v_readfirstlane_b32 s19, v5
	s_add_nc_u64 s[0:1], s[18:19], 1
	s_delay_alu instid0(SALU_CYCLE_1) | instskip(NEXT) | instid1(SALU_CYCLE_1)
	s_add_nc_u64 s[10:11], s[0:1], s[10:11]
	s_cmp_eq_u64 s[10:11], 0
	s_cselect_b32 s1, s1, s11
	s_cselect_b32 s0, s0, s10
	s_delay_alu instid0(SALU_CYCLE_1) | instskip(SKIP_1) | instid1(SALU_CYCLE_1)
	v_dual_mov_b32 v11, s1 :: v_dual_mov_b32 v10, s0
	s_and_b64 s[10:11], s[0:1], s[18:19]
	s_mul_u64 s[10:11], s[10:11], 24
	s_wait_loadcnt 0x0
	v_add_nc_u64_e32 v[8:9], s[10:11], v[6:7]
	global_store_b64 v[8:9], v[12:13], off
	global_wb scope:SCOPE_SYS
	s_wait_storecnt 0x0
	s_wait_xcnt 0x0
	global_atomic_cmpswap_b64 v[6:7], v53, v[10:13], s[2:3] offset:24 th:TH_ATOMIC_RETURN scope:SCOPE_SYS
	s_wait_loadcnt 0x0
	v_cmp_ne_u64_e32 vcc_lo, v[6:7], v[12:13]
	s_and_b32 exec_lo, exec_lo, vcc_lo
	s_cbranch_execz .LBB3_219
; %bb.293:                              ;   in Loop: Header=BB3_220 Depth=2
	s_mov_b32 s10, 0
.LBB3_294:                              ;   Parent Loop BB3_3 Depth=1
                                        ;     Parent Loop BB3_220 Depth=2
                                        ; =>    This Inner Loop Header: Depth=3
	v_dual_mov_b32 v4, s0 :: v_dual_mov_b32 v5, s1
	s_sleep 1
	global_store_b64 v[8:9], v[6:7], off
	global_wb scope:SCOPE_SYS
	s_wait_storecnt 0x0
	s_wait_xcnt 0x0
	global_atomic_cmpswap_b64 v[4:5], v53, v[4:7], s[2:3] offset:24 th:TH_ATOMIC_RETURN scope:SCOPE_SYS
	s_wait_loadcnt 0x0
	v_cmp_eq_u64_e32 vcc_lo, v[4:5], v[6:7]
	v_mov_b64_e32 v[6:7], v[4:5]
	s_or_b32 s10, vcc_lo, s10
	s_delay_alu instid0(SALU_CYCLE_1)
	s_and_not1_b32 exec_lo, exec_lo, s10
	s_cbranch_execnz .LBB3_294
	s_branch .LBB3_219
.LBB3_295:                              ;   in Loop: Header=BB3_3 Depth=1
	s_branch .LBB3_406
.LBB3_296:                              ;   in Loop: Header=BB3_3 Depth=1
	global_load_b64 v[0:1], v[0:1], off
	s_wait_xcnt 0x0
	s_and_saveexec_b32 s6, s0
	s_cbranch_execz .LBB3_300
; %bb.297:                              ;   in Loop: Header=BB3_3 Depth=1
	s_clause 0x2
	global_load_b64 v[2:3], v53, s[2:3] offset:40
	global_load_b64 v[10:11], v53, s[2:3] offset:24 scope:SCOPE_SYS
	global_load_b64 v[4:5], v53, s[2:3]
	s_wait_loadcnt 0x2
	v_readfirstlane_b32 s8, v2
	v_readfirstlane_b32 s9, v3
	s_add_nc_u64 s[0:1], s[8:9], 1
	s_delay_alu instid0(SALU_CYCLE_1) | instskip(NEXT) | instid1(SALU_CYCLE_1)
	s_add_nc_u64 s[4:5], s[0:1], s[4:5]
	s_cmp_eq_u64 s[4:5], 0
	s_cselect_b32 s1, s1, s5
	s_cselect_b32 s0, s0, s4
	s_delay_alu instid0(SALU_CYCLE_1) | instskip(SKIP_1) | instid1(SALU_CYCLE_1)
	v_dual_mov_b32 v9, s1 :: v_dual_mov_b32 v8, s0
	s_and_b64 s[4:5], s[0:1], s[8:9]
	s_mul_u64 s[4:5], s[4:5], 24
	s_wait_loadcnt 0x0
	v_add_nc_u64_e32 v[6:7], s[4:5], v[4:5]
	global_store_b64 v[6:7], v[10:11], off
	global_wb scope:SCOPE_SYS
	s_wait_storecnt 0x0
	s_wait_xcnt 0x0
	global_atomic_cmpswap_b64 v[4:5], v53, v[8:11], s[2:3] offset:24 th:TH_ATOMIC_RETURN scope:SCOPE_SYS
	s_wait_loadcnt 0x0
	v_cmp_ne_u64_e32 vcc_lo, v[4:5], v[10:11]
	s_and_b32 exec_lo, exec_lo, vcc_lo
	s_cbranch_execz .LBB3_300
; %bb.298:                              ;   in Loop: Header=BB3_3 Depth=1
	s_mov_b32 s4, 0
.LBB3_299:                              ;   Parent Loop BB3_3 Depth=1
                                        ; =>  This Inner Loop Header: Depth=2
	v_dual_mov_b32 v2, s0 :: v_dual_mov_b32 v3, s1
	s_sleep 1
	global_store_b64 v[6:7], v[4:5], off
	global_wb scope:SCOPE_SYS
	s_wait_storecnt 0x0
	s_wait_xcnt 0x0
	global_atomic_cmpswap_b64 v[2:3], v53, v[2:5], s[2:3] offset:24 th:TH_ATOMIC_RETURN scope:SCOPE_SYS
	s_wait_loadcnt 0x0
	v_cmp_eq_u64_e32 vcc_lo, v[2:3], v[4:5]
	v_mov_b64_e32 v[4:5], v[2:3]
	s_or_b32 s4, vcc_lo, s4
	s_delay_alu instid0(SALU_CYCLE_1)
	s_and_not1_b32 exec_lo, exec_lo, s4
	s_cbranch_execnz .LBB3_299
.LBB3_300:                              ;   in Loop: Header=BB3_3 Depth=1
	s_or_b32 exec_lo, exec_lo, s6
	s_delay_alu instid0(SALU_CYCLE_1)
	s_and_b32 vcc_lo, exec_lo, s60
	s_cbranch_vccz .LBB3_621
; %bb.301:                              ;   in Loop: Header=BB3_3 Depth=1
	s_wait_loadcnt 0x0
	v_dual_mov_b32 v3, v1 :: v_dual_bitop2_b32 v24, 2, v0 bitop3:0x40
	v_and_b32_e32 v2, -3, v0
	s_mov_b64 s[4:5], 45
	s_mov_b64 s[6:7], s[22:23]
	s_branch .LBB3_303
.LBB3_302:                              ;   in Loop: Header=BB3_303 Depth=2
	s_or_b32 exec_lo, exec_lo, s12
	s_sub_nc_u64 s[4:5], s[4:5], s[8:9]
	s_add_nc_u64 s[6:7], s[6:7], s[8:9]
	s_cmp_lg_u64 s[4:5], 0
	s_cbranch_scc0 .LBB3_619
.LBB3_303:                              ;   Parent Loop BB3_3 Depth=1
                                        ; =>  This Loop Header: Depth=2
                                        ;       Child Loop BB3_306 Depth 3
                                        ;       Child Loop BB3_313 Depth 3
	;; [unrolled: 1-line block ×11, first 2 shown]
	v_min_u64 v[4:5], s[4:5], 56
	v_cmp_gt_u64_e64 s0, s[4:5], 7
	s_and_b32 vcc_lo, exec_lo, s0
	v_readfirstlane_b32 s8, v4
	v_readfirstlane_b32 s9, v5
	s_cbranch_vccnz .LBB3_308
; %bb.304:                              ;   in Loop: Header=BB3_303 Depth=2
	v_mov_b64_e32 v[4:5], 0
	s_cmp_eq_u64 s[4:5], 0
	s_cbranch_scc1 .LBB3_307
; %bb.305:                              ;   in Loop: Header=BB3_303 Depth=2
	s_mov_b64 s[0:1], 0
	s_mov_b64 s[10:11], 0
.LBB3_306:                              ;   Parent Loop BB3_3 Depth=1
                                        ;     Parent Loop BB3_303 Depth=2
                                        ; =>    This Inner Loop Header: Depth=3
	s_wait_xcnt 0x0
	s_add_nc_u64 s[12:13], s[6:7], s[10:11]
	s_add_nc_u64 s[10:11], s[10:11], 1
	global_load_u8 v6, v53, s[12:13]
	s_cmp_lg_u32 s8, s10
	s_wait_loadcnt 0x0
	v_and_b32_e32 v52, 0xffff, v6
	s_delay_alu instid0(VALU_DEP_1) | instskip(SKIP_1) | instid1(VALU_DEP_1)
	v_lshlrev_b64_e32 v[6:7], s0, v[52:53]
	s_add_nc_u64 s[0:1], s[0:1], 8
	v_or_b32_e32 v4, v6, v4
	s_delay_alu instid0(VALU_DEP_2)
	v_or_b32_e32 v5, v7, v5
	s_cbranch_scc1 .LBB3_306
.LBB3_307:                              ;   in Loop: Header=BB3_303 Depth=2
	s_mov_b64 s[0:1], s[6:7]
	s_mov_b32 s17, 0
	s_cbranch_execz .LBB3_309
	s_branch .LBB3_310
.LBB3_308:                              ;   in Loop: Header=BB3_303 Depth=2
	s_add_nc_u64 s[0:1], s[6:7], 8
	s_mov_b32 s17, 0
.LBB3_309:                              ;   in Loop: Header=BB3_303 Depth=2
	global_load_b64 v[4:5], v53, s[6:7]
	s_add_co_i32 s17, s8, -8
.LBB3_310:                              ;   in Loop: Header=BB3_303 Depth=2
	s_delay_alu instid0(SALU_CYCLE_1)
	s_cmp_gt_u32 s17, 7
	s_cbranch_scc1 .LBB3_315
; %bb.311:                              ;   in Loop: Header=BB3_303 Depth=2
	v_mov_b64_e32 v[6:7], 0
	s_cmp_eq_u32 s17, 0
	s_cbranch_scc1 .LBB3_314
; %bb.312:                              ;   in Loop: Header=BB3_303 Depth=2
	s_mov_b64 s[10:11], 0
	s_wait_xcnt 0x0
	s_mov_b64 s[12:13], 0
.LBB3_313:                              ;   Parent Loop BB3_3 Depth=1
                                        ;     Parent Loop BB3_303 Depth=2
                                        ; =>    This Inner Loop Header: Depth=3
	s_wait_xcnt 0x0
	s_add_nc_u64 s[18:19], s[0:1], s[12:13]
	s_add_nc_u64 s[12:13], s[12:13], 1
	global_load_u8 v8, v53, s[18:19]
	s_cmp_lg_u32 s17, s12
	s_wait_loadcnt 0x0
	v_and_b32_e32 v52, 0xffff, v8
	s_delay_alu instid0(VALU_DEP_1) | instskip(SKIP_1) | instid1(VALU_DEP_1)
	v_lshlrev_b64_e32 v[8:9], s10, v[52:53]
	s_add_nc_u64 s[10:11], s[10:11], 8
	v_or_b32_e32 v6, v8, v6
	s_delay_alu instid0(VALU_DEP_2)
	v_or_b32_e32 v7, v9, v7
	s_cbranch_scc1 .LBB3_313
.LBB3_314:                              ;   in Loop: Header=BB3_303 Depth=2
	s_wait_xcnt 0x0
	s_mov_b64 s[10:11], s[0:1]
	s_mov_b32 s18, 0
	s_cbranch_execz .LBB3_316
	s_branch .LBB3_317
.LBB3_315:                              ;   in Loop: Header=BB3_303 Depth=2
	s_add_nc_u64 s[10:11], s[0:1], 8
	s_wait_xcnt 0x0
                                        ; implicit-def: $vgpr6_vgpr7
	s_mov_b32 s18, 0
.LBB3_316:                              ;   in Loop: Header=BB3_303 Depth=2
	global_load_b64 v[6:7], v53, s[0:1]
	s_add_co_i32 s18, s17, -8
.LBB3_317:                              ;   in Loop: Header=BB3_303 Depth=2
	s_delay_alu instid0(SALU_CYCLE_1)
	s_cmp_gt_u32 s18, 7
	s_cbranch_scc1 .LBB3_322
; %bb.318:                              ;   in Loop: Header=BB3_303 Depth=2
	v_mov_b64_e32 v[8:9], 0
	s_cmp_eq_u32 s18, 0
	s_cbranch_scc1 .LBB3_321
; %bb.319:                              ;   in Loop: Header=BB3_303 Depth=2
	s_wait_xcnt 0x0
	s_mov_b64 s[0:1], 0
	s_mov_b64 s[12:13], 0
.LBB3_320:                              ;   Parent Loop BB3_3 Depth=1
                                        ;     Parent Loop BB3_303 Depth=2
                                        ; =>    This Inner Loop Header: Depth=3
	s_wait_xcnt 0x0
	s_add_nc_u64 s[30:31], s[10:11], s[12:13]
	s_add_nc_u64 s[12:13], s[12:13], 1
	global_load_u8 v10, v53, s[30:31]
	s_cmp_lg_u32 s18, s12
	s_wait_loadcnt 0x0
	v_and_b32_e32 v52, 0xffff, v10
	s_delay_alu instid0(VALU_DEP_1) | instskip(SKIP_1) | instid1(VALU_DEP_1)
	v_lshlrev_b64_e32 v[10:11], s0, v[52:53]
	s_add_nc_u64 s[0:1], s[0:1], 8
	v_or_b32_e32 v8, v10, v8
	s_delay_alu instid0(VALU_DEP_2)
	v_or_b32_e32 v9, v11, v9
	s_cbranch_scc1 .LBB3_320
.LBB3_321:                              ;   in Loop: Header=BB3_303 Depth=2
	s_wait_xcnt 0x0
	s_mov_b64 s[0:1], s[10:11]
	s_mov_b32 s17, 0
	s_cbranch_execz .LBB3_323
	s_branch .LBB3_324
.LBB3_322:                              ;   in Loop: Header=BB3_303 Depth=2
	s_wait_xcnt 0x0
	s_add_nc_u64 s[0:1], s[10:11], 8
	s_mov_b32 s17, 0
.LBB3_323:                              ;   in Loop: Header=BB3_303 Depth=2
	global_load_b64 v[8:9], v53, s[10:11]
	s_add_co_i32 s17, s18, -8
.LBB3_324:                              ;   in Loop: Header=BB3_303 Depth=2
	s_delay_alu instid0(SALU_CYCLE_1)
	s_cmp_gt_u32 s17, 7
	s_cbranch_scc1 .LBB3_329
; %bb.325:                              ;   in Loop: Header=BB3_303 Depth=2
	v_mov_b64_e32 v[10:11], 0
	s_cmp_eq_u32 s17, 0
	s_cbranch_scc1 .LBB3_328
; %bb.326:                              ;   in Loop: Header=BB3_303 Depth=2
	s_wait_xcnt 0x0
	s_mov_b64 s[10:11], 0
	s_mov_b64 s[12:13], 0
.LBB3_327:                              ;   Parent Loop BB3_3 Depth=1
                                        ;     Parent Loop BB3_303 Depth=2
                                        ; =>    This Inner Loop Header: Depth=3
	s_wait_xcnt 0x0
	s_add_nc_u64 s[18:19], s[0:1], s[12:13]
	s_add_nc_u64 s[12:13], s[12:13], 1
	global_load_u8 v12, v53, s[18:19]
	s_cmp_lg_u32 s17, s12
	s_wait_loadcnt 0x0
	v_and_b32_e32 v52, 0xffff, v12
	s_delay_alu instid0(VALU_DEP_1) | instskip(SKIP_1) | instid1(VALU_DEP_1)
	v_lshlrev_b64_e32 v[12:13], s10, v[52:53]
	s_add_nc_u64 s[10:11], s[10:11], 8
	v_or_b32_e32 v10, v12, v10
	s_delay_alu instid0(VALU_DEP_2)
	v_or_b32_e32 v11, v13, v11
	s_cbranch_scc1 .LBB3_327
.LBB3_328:                              ;   in Loop: Header=BB3_303 Depth=2
	s_wait_xcnt 0x0
	s_mov_b64 s[10:11], s[0:1]
	s_mov_b32 s18, 0
	s_cbranch_execz .LBB3_330
	s_branch .LBB3_331
.LBB3_329:                              ;   in Loop: Header=BB3_303 Depth=2
	s_wait_xcnt 0x0
	s_add_nc_u64 s[10:11], s[0:1], 8
                                        ; implicit-def: $vgpr10_vgpr11
	s_mov_b32 s18, 0
.LBB3_330:                              ;   in Loop: Header=BB3_303 Depth=2
	global_load_b64 v[10:11], v53, s[0:1]
	s_add_co_i32 s18, s17, -8
.LBB3_331:                              ;   in Loop: Header=BB3_303 Depth=2
	s_delay_alu instid0(SALU_CYCLE_1)
	s_cmp_gt_u32 s18, 7
	s_cbranch_scc1 .LBB3_336
; %bb.332:                              ;   in Loop: Header=BB3_303 Depth=2
	v_mov_b64_e32 v[12:13], 0
	s_cmp_eq_u32 s18, 0
	s_cbranch_scc1 .LBB3_335
; %bb.333:                              ;   in Loop: Header=BB3_303 Depth=2
	s_wait_xcnt 0x0
	s_mov_b64 s[0:1], 0
	s_mov_b64 s[12:13], 0
.LBB3_334:                              ;   Parent Loop BB3_3 Depth=1
                                        ;     Parent Loop BB3_303 Depth=2
                                        ; =>    This Inner Loop Header: Depth=3
	s_wait_xcnt 0x0
	s_add_nc_u64 s[30:31], s[10:11], s[12:13]
	s_add_nc_u64 s[12:13], s[12:13], 1
	global_load_u8 v14, v53, s[30:31]
	s_cmp_lg_u32 s18, s12
	s_wait_loadcnt 0x0
	v_and_b32_e32 v52, 0xffff, v14
	s_delay_alu instid0(VALU_DEP_1) | instskip(SKIP_1) | instid1(VALU_DEP_1)
	v_lshlrev_b64_e32 v[14:15], s0, v[52:53]
	s_add_nc_u64 s[0:1], s[0:1], 8
	v_or_b32_e32 v12, v14, v12
	s_delay_alu instid0(VALU_DEP_2)
	v_or_b32_e32 v13, v15, v13
	s_cbranch_scc1 .LBB3_334
.LBB3_335:                              ;   in Loop: Header=BB3_303 Depth=2
	s_wait_xcnt 0x0
	s_mov_b64 s[0:1], s[10:11]
	s_mov_b32 s17, 0
	s_cbranch_execz .LBB3_337
	s_branch .LBB3_338
.LBB3_336:                              ;   in Loop: Header=BB3_303 Depth=2
	s_wait_xcnt 0x0
	s_add_nc_u64 s[0:1], s[10:11], 8
	s_mov_b32 s17, 0
.LBB3_337:                              ;   in Loop: Header=BB3_303 Depth=2
	global_load_b64 v[12:13], v53, s[10:11]
	s_add_co_i32 s17, s18, -8
.LBB3_338:                              ;   in Loop: Header=BB3_303 Depth=2
	s_delay_alu instid0(SALU_CYCLE_1)
	s_cmp_gt_u32 s17, 7
	s_cbranch_scc1 .LBB3_343
; %bb.339:                              ;   in Loop: Header=BB3_303 Depth=2
	v_mov_b64_e32 v[14:15], 0
	s_cmp_eq_u32 s17, 0
	s_cbranch_scc1 .LBB3_342
; %bb.340:                              ;   in Loop: Header=BB3_303 Depth=2
	s_wait_xcnt 0x0
	s_mov_b64 s[10:11], 0
	s_mov_b64 s[12:13], 0
.LBB3_341:                              ;   Parent Loop BB3_3 Depth=1
                                        ;     Parent Loop BB3_303 Depth=2
                                        ; =>    This Inner Loop Header: Depth=3
	s_wait_xcnt 0x0
	s_add_nc_u64 s[18:19], s[0:1], s[12:13]
	s_add_nc_u64 s[12:13], s[12:13], 1
	global_load_u8 v16, v53, s[18:19]
	s_cmp_lg_u32 s17, s12
	s_wait_loadcnt 0x0
	v_and_b32_e32 v52, 0xffff, v16
	s_delay_alu instid0(VALU_DEP_1) | instskip(SKIP_1) | instid1(VALU_DEP_1)
	v_lshlrev_b64_e32 v[16:17], s10, v[52:53]
	s_add_nc_u64 s[10:11], s[10:11], 8
	v_or_b32_e32 v14, v16, v14
	s_delay_alu instid0(VALU_DEP_2)
	v_or_b32_e32 v15, v17, v15
	s_cbranch_scc1 .LBB3_341
.LBB3_342:                              ;   in Loop: Header=BB3_303 Depth=2
	s_wait_xcnt 0x0
	s_mov_b64 s[10:11], s[0:1]
	s_mov_b32 s18, 0
	s_cbranch_execz .LBB3_344
	s_branch .LBB3_345
.LBB3_343:                              ;   in Loop: Header=BB3_303 Depth=2
	s_wait_xcnt 0x0
	s_add_nc_u64 s[10:11], s[0:1], 8
                                        ; implicit-def: $vgpr14_vgpr15
	s_mov_b32 s18, 0
.LBB3_344:                              ;   in Loop: Header=BB3_303 Depth=2
	global_load_b64 v[14:15], v53, s[0:1]
	s_add_co_i32 s18, s17, -8
.LBB3_345:                              ;   in Loop: Header=BB3_303 Depth=2
	s_delay_alu instid0(SALU_CYCLE_1)
	s_cmp_gt_u32 s18, 7
	s_cbranch_scc1 .LBB3_350
; %bb.346:                              ;   in Loop: Header=BB3_303 Depth=2
	v_mov_b64_e32 v[16:17], 0
	s_cmp_eq_u32 s18, 0
	s_cbranch_scc1 .LBB3_349
; %bb.347:                              ;   in Loop: Header=BB3_303 Depth=2
	s_wait_xcnt 0x0
	s_mov_b64 s[0:1], 0
	s_mov_b64 s[12:13], s[10:11]
.LBB3_348:                              ;   Parent Loop BB3_3 Depth=1
                                        ;     Parent Loop BB3_303 Depth=2
                                        ; =>    This Inner Loop Header: Depth=3
	global_load_u8 v18, v53, s[12:13]
	s_add_co_i32 s18, s18, -1
	s_wait_xcnt 0x0
	s_add_nc_u64 s[12:13], s[12:13], 1
	s_cmp_lg_u32 s18, 0
	s_wait_loadcnt 0x0
	v_and_b32_e32 v52, 0xffff, v18
	s_delay_alu instid0(VALU_DEP_1) | instskip(SKIP_1) | instid1(VALU_DEP_1)
	v_lshlrev_b64_e32 v[18:19], s0, v[52:53]
	s_add_nc_u64 s[0:1], s[0:1], 8
	v_or_b32_e32 v16, v18, v16
	s_delay_alu instid0(VALU_DEP_2)
	v_or_b32_e32 v17, v19, v17
	s_cbranch_scc1 .LBB3_348
.LBB3_349:                              ;   in Loop: Header=BB3_303 Depth=2
	s_wait_xcnt 0x0
	s_cbranch_execz .LBB3_351
	s_branch .LBB3_352
.LBB3_350:                              ;   in Loop: Header=BB3_303 Depth=2
	s_wait_xcnt 0x0
.LBB3_351:                              ;   in Loop: Header=BB3_303 Depth=2
	global_load_b64 v[16:17], v53, s[10:11]
.LBB3_352:                              ;   in Loop: Header=BB3_303 Depth=2
	v_readfirstlane_b32 s0, v80
	v_mov_b64_e32 v[26:27], 0
	s_delay_alu instid0(VALU_DEP_2)
	v_cmp_eq_u32_e64 s0, s0, v80
	s_wait_xcnt 0x0
	s_and_saveexec_b32 s1, s0
	s_cbranch_execz .LBB3_358
; %bb.353:                              ;   in Loop: Header=BB3_303 Depth=2
	global_load_b64 v[20:21], v53, s[2:3] offset:24 scope:SCOPE_SYS
	s_wait_loadcnt 0x0
	global_inv scope:SCOPE_SYS
	s_clause 0x1
	global_load_b64 v[18:19], v53, s[2:3] offset:40
	global_load_b64 v[26:27], v53, s[2:3]
	s_mov_b32 s10, exec_lo
	s_wait_loadcnt 0x1
	v_and_b32_e32 v18, v18, v20
	v_and_b32_e32 v19, v19, v21
	s_delay_alu instid0(VALU_DEP_1) | instskip(SKIP_1) | instid1(VALU_DEP_1)
	v_mul_u64_e32 v[18:19], 24, v[18:19]
	s_wait_loadcnt 0x0
	v_add_nc_u64_e32 v[18:19], v[26:27], v[18:19]
	global_load_b64 v[18:19], v[18:19], off scope:SCOPE_SYS
	s_wait_xcnt 0x0
	s_wait_loadcnt 0x0
	global_atomic_cmpswap_b64 v[26:27], v53, v[18:21], s[2:3] offset:24 th:TH_ATOMIC_RETURN scope:SCOPE_SYS
	s_wait_loadcnt 0x0
	global_inv scope:SCOPE_SYS
	s_wait_xcnt 0x0
	v_cmpx_ne_u64_e64 v[26:27], v[20:21]
	s_cbranch_execz .LBB3_357
; %bb.354:                              ;   in Loop: Header=BB3_303 Depth=2
	s_mov_b32 s11, 0
.LBB3_355:                              ;   Parent Loop BB3_3 Depth=1
                                        ;     Parent Loop BB3_303 Depth=2
                                        ; =>    This Inner Loop Header: Depth=3
	s_sleep 1
	s_clause 0x1
	global_load_b64 v[18:19], v53, s[2:3] offset:40
	global_load_b64 v[28:29], v53, s[2:3]
	v_mov_b64_e32 v[20:21], v[26:27]
	s_wait_loadcnt 0x1
	s_delay_alu instid0(VALU_DEP_1) | instskip(SKIP_1) | instid1(VALU_DEP_1)
	v_and_b32_e32 v18, v18, v20
	s_wait_loadcnt 0x0
	v_mad_nc_u64_u32 v[26:27], v18, 24, v[28:29]
	s_delay_alu instid0(VALU_DEP_3) | instskip(NEXT) | instid1(VALU_DEP_1)
	v_and_b32_e32 v18, v19, v21
	v_mad_u32 v27, v18, 24, v27
	global_load_b64 v[18:19], v[26:27], off scope:SCOPE_SYS
	s_wait_xcnt 0x0
	s_wait_loadcnt 0x0
	global_atomic_cmpswap_b64 v[26:27], v53, v[18:21], s[2:3] offset:24 th:TH_ATOMIC_RETURN scope:SCOPE_SYS
	s_wait_loadcnt 0x0
	global_inv scope:SCOPE_SYS
	v_cmp_eq_u64_e32 vcc_lo, v[26:27], v[20:21]
	s_or_b32 s11, vcc_lo, s11
	s_wait_xcnt 0x0
	s_and_not1_b32 exec_lo, exec_lo, s11
	s_cbranch_execnz .LBB3_355
; %bb.356:                              ;   in Loop: Header=BB3_303 Depth=2
	s_or_b32 exec_lo, exec_lo, s11
.LBB3_357:                              ;   in Loop: Header=BB3_303 Depth=2
	s_delay_alu instid0(SALU_CYCLE_1)
	s_or_b32 exec_lo, exec_lo, s10
.LBB3_358:                              ;   in Loop: Header=BB3_303 Depth=2
	s_delay_alu instid0(SALU_CYCLE_1)
	s_or_b32 exec_lo, exec_lo, s1
	s_clause 0x1
	global_load_b64 v[28:29], v53, s[2:3] offset:40
	global_load_b128 v[18:21], v53, s[2:3]
	v_readfirstlane_b32 s10, v26
	v_readfirstlane_b32 s11, v27
	s_mov_b32 s1, exec_lo
	s_wait_loadcnt 0x1
	v_and_b32_e32 v28, s10, v28
	v_and_b32_e32 v29, s11, v29
	s_delay_alu instid0(VALU_DEP_1) | instskip(SKIP_1) | instid1(VALU_DEP_1)
	v_mul_u64_e32 v[26:27], 24, v[28:29]
	s_wait_loadcnt 0x0
	v_add_nc_u64_e32 v[26:27], v[18:19], v[26:27]
	s_wait_xcnt 0x0
	s_and_saveexec_b32 s12, s0
	s_cbranch_execz .LBB3_360
; %bb.359:                              ;   in Loop: Header=BB3_303 Depth=2
	v_mov_b32_e32 v52, s1
	global_store_b128 v[26:27], v[52:55], off offset:8
.LBB3_360:                              ;   in Loop: Header=BB3_303 Depth=2
	s_wait_xcnt 0x0
	s_or_b32 exec_lo, exec_lo, s12
	v_cmp_lt_u64_e64 vcc_lo, s[4:5], 57
	v_lshlrev_b64_e32 v[28:29], 12, v[28:29]
	v_and_b32_e32 v2, 0xffffff1f, v2
	s_lshl_b32 s1, s8, 2
	s_delay_alu instid0(SALU_CYCLE_1) | instskip(SKIP_1) | instid1(VALU_DEP_3)
	s_add_co_i32 s1, s1, 28
	v_cndmask_b32_e32 v23, 0, v24, vcc_lo
	v_add_nc_u64_e32 v[20:21], v[20:21], v[28:29]
	s_delay_alu instid0(VALU_DEP_2) | instskip(NEXT) | instid1(VALU_DEP_2)
	v_or_b32_e32 v2, v2, v23
	v_readfirstlane_b32 s12, v20
	s_delay_alu instid0(VALU_DEP_3) | instskip(NEXT) | instid1(VALU_DEP_3)
	v_readfirstlane_b32 s13, v21
	v_and_or_b32 v2, 0x1e0, s1, v2
	s_clause 0x3
	global_store_b128 v22, v[2:5], s[12:13]
	global_store_b128 v22, v[6:9], s[12:13] offset:16
	global_store_b128 v22, v[10:13], s[12:13] offset:32
	;; [unrolled: 1-line block ×3, first 2 shown]
	s_wait_xcnt 0x0
	s_and_saveexec_b32 s1, s0
	s_cbranch_execz .LBB3_368
; %bb.361:                              ;   in Loop: Header=BB3_303 Depth=2
	s_clause 0x1
	global_load_b64 v[10:11], v53, s[2:3] offset:32 scope:SCOPE_SYS
	global_load_b64 v[2:3], v53, s[2:3] offset:40
	s_mov_b32 s12, exec_lo
	v_dual_mov_b32 v8, s10 :: v_dual_mov_b32 v9, s11
	s_wait_loadcnt 0x0
	v_and_b32_e32 v3, s11, v3
	v_and_b32_e32 v2, s10, v2
	s_delay_alu instid0(VALU_DEP_1) | instskip(NEXT) | instid1(VALU_DEP_1)
	v_mul_u64_e32 v[2:3], 24, v[2:3]
	v_add_nc_u64_e32 v[6:7], v[18:19], v[2:3]
	global_store_b64 v[6:7], v[10:11], off
	global_wb scope:SCOPE_SYS
	s_wait_storecnt 0x0
	s_wait_xcnt 0x0
	global_atomic_cmpswap_b64 v[4:5], v53, v[8:11], s[2:3] offset:32 th:TH_ATOMIC_RETURN scope:SCOPE_SYS
	s_wait_loadcnt 0x0
	v_cmpx_ne_u64_e64 v[4:5], v[10:11]
	s_cbranch_execz .LBB3_364
; %bb.362:                              ;   in Loop: Header=BB3_303 Depth=2
	s_mov_b32 s13, 0
.LBB3_363:                              ;   Parent Loop BB3_3 Depth=1
                                        ;     Parent Loop BB3_303 Depth=2
                                        ; =>    This Inner Loop Header: Depth=3
	v_dual_mov_b32 v2, s10 :: v_dual_mov_b32 v3, s11
	s_sleep 1
	global_store_b64 v[6:7], v[4:5], off
	global_wb scope:SCOPE_SYS
	s_wait_storecnt 0x0
	s_wait_xcnt 0x0
	global_atomic_cmpswap_b64 v[2:3], v53, v[2:5], s[2:3] offset:32 th:TH_ATOMIC_RETURN scope:SCOPE_SYS
	s_wait_loadcnt 0x0
	v_cmp_eq_u64_e32 vcc_lo, v[2:3], v[4:5]
	v_mov_b64_e32 v[4:5], v[2:3]
	s_or_b32 s13, vcc_lo, s13
	s_delay_alu instid0(SALU_CYCLE_1)
	s_and_not1_b32 exec_lo, exec_lo, s13
	s_cbranch_execnz .LBB3_363
.LBB3_364:                              ;   in Loop: Header=BB3_303 Depth=2
	s_or_b32 exec_lo, exec_lo, s12
	global_load_b64 v[2:3], v53, s[2:3] offset:16
	s_mov_b32 s13, exec_lo
	s_mov_b32 s12, exec_lo
	v_mbcnt_lo_u32_b32 v4, s13, 0
	s_wait_xcnt 0x0
	s_delay_alu instid0(VALU_DEP_1)
	v_cmpx_eq_u32_e32 0, v4
	s_cbranch_execz .LBB3_366
; %bb.365:                              ;   in Loop: Header=BB3_303 Depth=2
	s_bcnt1_i32_b32 s13, s13
	s_delay_alu instid0(SALU_CYCLE_1)
	v_mov_b32_e32 v52, s13
	global_wb scope:SCOPE_SYS
	s_wait_loadcnt 0x0
	s_wait_storecnt 0x0
	global_atomic_add_u64 v[2:3], v[52:53], off offset:8 scope:SCOPE_SYS
.LBB3_366:                              ;   in Loop: Header=BB3_303 Depth=2
	s_wait_xcnt 0x0
	s_or_b32 exec_lo, exec_lo, s12
	s_wait_loadcnt 0x0
	global_load_b64 v[4:5], v[2:3], off offset:16
	s_wait_loadcnt 0x0
	v_cmp_eq_u64_e32 vcc_lo, 0, v[4:5]
	s_cbranch_vccnz .LBB3_368
; %bb.367:                              ;   in Loop: Header=BB3_303 Depth=2
	global_load_b32 v52, v[2:3], off offset:24
	s_wait_loadcnt 0x0
	v_readfirstlane_b32 s12, v52
	global_wb scope:SCOPE_SYS
	s_wait_storecnt 0x0
	s_wait_xcnt 0x0
	global_store_b64 v[4:5], v[52:53], off scope:SCOPE_SYS
	s_and_b32 m0, s12, 0xffffff
	s_sendmsg sendmsg(MSG_INTERRUPT)
.LBB3_368:                              ;   in Loop: Header=BB3_303 Depth=2
	s_wait_xcnt 0x0
	s_or_b32 exec_lo, exec_lo, s1
	v_mov_b32_e32 v23, v53
	s_delay_alu instid0(VALU_DEP_1)
	v_add_nc_u64_e32 v[2:3], v[20:21], v[22:23]
	s_branch .LBB3_372
.LBB3_369:                              ;   in Loop: Header=BB3_372 Depth=3
	s_wait_xcnt 0x0
	s_or_b32 exec_lo, exec_lo, s1
	s_delay_alu instid0(VALU_DEP_1)
	v_readfirstlane_b32 s1, v4
	s_cmp_eq_u32 s1, 0
	s_cbranch_scc1 .LBB3_371
; %bb.370:                              ;   in Loop: Header=BB3_372 Depth=3
	s_sleep 1
	s_cbranch_execnz .LBB3_372
	s_branch .LBB3_374
.LBB3_371:                              ;   in Loop: Header=BB3_303 Depth=2
	s_branch .LBB3_374
.LBB3_372:                              ;   Parent Loop BB3_3 Depth=1
                                        ;     Parent Loop BB3_303 Depth=2
                                        ; =>    This Inner Loop Header: Depth=3
	v_mov_b32_e32 v4, 1
	s_and_saveexec_b32 s1, s0
	s_cbranch_execz .LBB3_369
; %bb.373:                              ;   in Loop: Header=BB3_372 Depth=3
	global_load_b32 v4, v[26:27], off offset:20 scope:SCOPE_SYS
	s_wait_loadcnt 0x0
	global_inv scope:SCOPE_SYS
	v_and_b32_e32 v4, 1, v4
	s_branch .LBB3_369
.LBB3_374:                              ;   in Loop: Header=BB3_303 Depth=2
	global_load_b64 v[2:3], v[2:3], off
	s_wait_xcnt 0x0
	s_and_saveexec_b32 s12, s0
	s_cbranch_execz .LBB3_302
; %bb.375:                              ;   in Loop: Header=BB3_303 Depth=2
	s_clause 0x2
	global_load_b64 v[4:5], v53, s[2:3] offset:40
	global_load_b64 v[12:13], v53, s[2:3] offset:24 scope:SCOPE_SYS
	global_load_b64 v[6:7], v53, s[2:3]
	s_wait_loadcnt 0x2
	v_readfirstlane_b32 s18, v4
	v_readfirstlane_b32 s19, v5
	s_add_nc_u64 s[0:1], s[18:19], 1
	s_delay_alu instid0(SALU_CYCLE_1) | instskip(NEXT) | instid1(SALU_CYCLE_1)
	s_add_nc_u64 s[10:11], s[0:1], s[10:11]
	s_cmp_eq_u64 s[10:11], 0
	s_cselect_b32 s1, s1, s11
	s_cselect_b32 s0, s0, s10
	s_delay_alu instid0(SALU_CYCLE_1) | instskip(SKIP_1) | instid1(SALU_CYCLE_1)
	v_dual_mov_b32 v11, s1 :: v_dual_mov_b32 v10, s0
	s_and_b64 s[10:11], s[0:1], s[18:19]
	s_mul_u64 s[10:11], s[10:11], 24
	s_wait_loadcnt 0x0
	v_add_nc_u64_e32 v[8:9], s[10:11], v[6:7]
	global_store_b64 v[8:9], v[12:13], off
	global_wb scope:SCOPE_SYS
	s_wait_storecnt 0x0
	s_wait_xcnt 0x0
	global_atomic_cmpswap_b64 v[6:7], v53, v[10:13], s[2:3] offset:24 th:TH_ATOMIC_RETURN scope:SCOPE_SYS
	s_wait_loadcnt 0x0
	v_cmp_ne_u64_e32 vcc_lo, v[6:7], v[12:13]
	s_and_b32 exec_lo, exec_lo, vcc_lo
	s_cbranch_execz .LBB3_302
; %bb.376:                              ;   in Loop: Header=BB3_303 Depth=2
	s_mov_b32 s10, 0
.LBB3_377:                              ;   Parent Loop BB3_3 Depth=1
                                        ;     Parent Loop BB3_303 Depth=2
                                        ; =>    This Inner Loop Header: Depth=3
	v_dual_mov_b32 v4, s0 :: v_dual_mov_b32 v5, s1
	s_sleep 1
	global_store_b64 v[8:9], v[6:7], off
	global_wb scope:SCOPE_SYS
	s_wait_storecnt 0x0
	s_wait_xcnt 0x0
	global_atomic_cmpswap_b64 v[4:5], v53, v[4:7], s[2:3] offset:24 th:TH_ATOMIC_RETURN scope:SCOPE_SYS
	s_wait_loadcnt 0x0
	v_cmp_eq_u64_e32 vcc_lo, v[4:5], v[6:7]
	v_mov_b64_e32 v[6:7], v[4:5]
	s_or_b32 s10, vcc_lo, s10
	s_delay_alu instid0(SALU_CYCLE_1)
	s_and_not1_b32 exec_lo, exec_lo, s10
	s_cbranch_execnz .LBB3_377
	s_branch .LBB3_302
.LBB3_378:                              ;   in Loop: Header=BB3_3 Depth=1
                                        ; implicit-def: $vgpr2_vgpr3
	s_cbranch_execz .LBB3_406
; %bb.379:                              ;   in Loop: Header=BB3_3 Depth=1
	v_readfirstlane_b32 s0, v80
	s_wait_loadcnt 0x0
	v_mov_b64_e32 v[2:3], 0
	s_delay_alu instid0(VALU_DEP_2)
	v_cmp_eq_u32_e64 s0, s0, v80
	s_and_saveexec_b32 s1, s0
	s_cbranch_execz .LBB3_385
; %bb.380:                              ;   in Loop: Header=BB3_3 Depth=1
	global_load_b64 v[4:5], v53, s[2:3] offset:24 scope:SCOPE_SYS
	s_wait_loadcnt 0x0
	global_inv scope:SCOPE_SYS
	s_clause 0x1
	global_load_b64 v[2:3], v53, s[2:3] offset:40
	global_load_b64 v[6:7], v53, s[2:3]
	s_mov_b32 s4, exec_lo
	s_wait_loadcnt 0x1
	v_and_b32_e32 v2, v2, v4
	v_and_b32_e32 v3, v3, v5
	s_delay_alu instid0(VALU_DEP_1) | instskip(SKIP_1) | instid1(VALU_DEP_1)
	v_mul_u64_e32 v[2:3], 24, v[2:3]
	s_wait_loadcnt 0x0
	v_add_nc_u64_e32 v[2:3], v[6:7], v[2:3]
	global_load_b64 v[2:3], v[2:3], off scope:SCOPE_SYS
	s_wait_xcnt 0x0
	s_wait_loadcnt 0x0
	global_atomic_cmpswap_b64 v[2:3], v53, v[2:5], s[2:3] offset:24 th:TH_ATOMIC_RETURN scope:SCOPE_SYS
	s_wait_loadcnt 0x0
	global_inv scope:SCOPE_SYS
	s_wait_xcnt 0x0
	v_cmpx_ne_u64_e64 v[2:3], v[4:5]
	s_cbranch_execz .LBB3_384
; %bb.381:                              ;   in Loop: Header=BB3_3 Depth=1
	s_mov_b32 s5, 0
.LBB3_382:                              ;   Parent Loop BB3_3 Depth=1
                                        ; =>  This Inner Loop Header: Depth=2
	s_sleep 1
	s_clause 0x1
	global_load_b64 v[6:7], v53, s[2:3] offset:40
	global_load_b64 v[8:9], v53, s[2:3]
	v_mov_b64_e32 v[4:5], v[2:3]
	s_wait_loadcnt 0x1
	s_delay_alu instid0(VALU_DEP_1) | instskip(NEXT) | instid1(VALU_DEP_2)
	v_and_b32_e32 v2, v6, v4
	v_and_b32_e32 v6, v7, v5
	s_wait_loadcnt 0x0
	s_delay_alu instid0(VALU_DEP_2) | instskip(NEXT) | instid1(VALU_DEP_1)
	v_mad_nc_u64_u32 v[2:3], v2, 24, v[8:9]
	v_mad_u32 v3, v6, 24, v3
	global_load_b64 v[2:3], v[2:3], off scope:SCOPE_SYS
	s_wait_xcnt 0x0
	s_wait_loadcnt 0x0
	global_atomic_cmpswap_b64 v[2:3], v53, v[2:5], s[2:3] offset:24 th:TH_ATOMIC_RETURN scope:SCOPE_SYS
	s_wait_loadcnt 0x0
	global_inv scope:SCOPE_SYS
	v_cmp_eq_u64_e32 vcc_lo, v[2:3], v[4:5]
	s_or_b32 s5, vcc_lo, s5
	s_wait_xcnt 0x0
	s_and_not1_b32 exec_lo, exec_lo, s5
	s_cbranch_execnz .LBB3_382
; %bb.383:                              ;   in Loop: Header=BB3_3 Depth=1
	s_or_b32 exec_lo, exec_lo, s5
.LBB3_384:                              ;   in Loop: Header=BB3_3 Depth=1
	s_delay_alu instid0(SALU_CYCLE_1)
	s_or_b32 exec_lo, exec_lo, s4
.LBB3_385:                              ;   in Loop: Header=BB3_3 Depth=1
	s_delay_alu instid0(SALU_CYCLE_1)
	s_or_b32 exec_lo, exec_lo, s1
	s_clause 0x1
	global_load_b64 v[8:9], v53, s[2:3] offset:40
	global_load_b128 v[4:7], v53, s[2:3]
	v_readfirstlane_b32 s4, v2
	v_readfirstlane_b32 s5, v3
	s_mov_b32 s1, exec_lo
	s_wait_loadcnt 0x1
	v_and_b32_e32 v2, s4, v8
	v_and_b32_e32 v3, s5, v9
	s_delay_alu instid0(VALU_DEP_1) | instskip(SKIP_1) | instid1(VALU_DEP_1)
	v_mul_u64_e32 v[8:9], 24, v[2:3]
	s_wait_loadcnt 0x0
	v_add_nc_u64_e32 v[8:9], v[4:5], v[8:9]
	s_wait_xcnt 0x0
	s_and_saveexec_b32 s6, s0
	s_cbranch_execz .LBB3_387
; %bb.386:                              ;   in Loop: Header=BB3_3 Depth=1
	v_mov_b32_e32 v52, s1
	global_store_b128 v[8:9], v[52:55], off offset:8
.LBB3_387:                              ;   in Loop: Header=BB3_3 Depth=1
	s_wait_xcnt 0x0
	s_or_b32 exec_lo, exec_lo, s6
	v_lshlrev_b64_e32 v[2:3], 12, v[2:3]
	s_mov_b32 s17, s16
	s_mov_b32 s18, s16
	;; [unrolled: 1-line block ×3, first 2 shown]
	v_mov_b64_e32 v[10:11], s[16:17]
	v_mov_b64_e32 v[12:13], s[18:19]
	v_and_or_b32 v0, 0xffffff1f, v0, 32
	v_add_nc_u64_e32 v[6:7], v[6:7], v[2:3]
	v_dual_mov_b32 v2, v53 :: v_dual_mov_b32 v3, v53
	s_delay_alu instid0(VALU_DEP_2) | instskip(NEXT) | instid1(VALU_DEP_3)
	v_readfirstlane_b32 s6, v6
	v_readfirstlane_b32 s7, v7
	s_clause 0x3
	global_store_b128 v22, v[0:3], s[6:7]
	global_store_b128 v22, v[10:13], s[6:7] offset:16
	global_store_b128 v22, v[10:13], s[6:7] offset:32
	;; [unrolled: 1-line block ×3, first 2 shown]
	s_wait_xcnt 0x0
	s_and_saveexec_b32 s1, s0
	s_cbranch_execz .LBB3_395
; %bb.388:                              ;   in Loop: Header=BB3_3 Depth=1
	s_clause 0x1
	global_load_b64 v[12:13], v53, s[2:3] offset:32 scope:SCOPE_SYS
	global_load_b64 v[0:1], v53, s[2:3] offset:40
	s_mov_b32 s6, exec_lo
	v_dual_mov_b32 v10, s4 :: v_dual_mov_b32 v11, s5
	s_wait_loadcnt 0x0
	v_and_b32_e32 v1, s5, v1
	v_and_b32_e32 v0, s4, v0
	s_delay_alu instid0(VALU_DEP_1) | instskip(NEXT) | instid1(VALU_DEP_1)
	v_mul_u64_e32 v[0:1], 24, v[0:1]
	v_add_nc_u64_e32 v[4:5], v[4:5], v[0:1]
	global_store_b64 v[4:5], v[12:13], off
	global_wb scope:SCOPE_SYS
	s_wait_storecnt 0x0
	s_wait_xcnt 0x0
	global_atomic_cmpswap_b64 v[2:3], v53, v[10:13], s[2:3] offset:32 th:TH_ATOMIC_RETURN scope:SCOPE_SYS
	s_wait_loadcnt 0x0
	v_cmpx_ne_u64_e64 v[2:3], v[12:13]
	s_cbranch_execz .LBB3_391
; %bb.389:                              ;   in Loop: Header=BB3_3 Depth=1
	s_mov_b32 s7, 0
.LBB3_390:                              ;   Parent Loop BB3_3 Depth=1
                                        ; =>  This Inner Loop Header: Depth=2
	v_dual_mov_b32 v0, s4 :: v_dual_mov_b32 v1, s5
	s_sleep 1
	global_store_b64 v[4:5], v[2:3], off
	global_wb scope:SCOPE_SYS
	s_wait_storecnt 0x0
	s_wait_xcnt 0x0
	global_atomic_cmpswap_b64 v[0:1], v53, v[0:3], s[2:3] offset:32 th:TH_ATOMIC_RETURN scope:SCOPE_SYS
	s_wait_loadcnt 0x0
	v_cmp_eq_u64_e32 vcc_lo, v[0:1], v[2:3]
	v_mov_b64_e32 v[2:3], v[0:1]
	s_or_b32 s7, vcc_lo, s7
	s_delay_alu instid0(SALU_CYCLE_1)
	s_and_not1_b32 exec_lo, exec_lo, s7
	s_cbranch_execnz .LBB3_390
.LBB3_391:                              ;   in Loop: Header=BB3_3 Depth=1
	s_or_b32 exec_lo, exec_lo, s6
	global_load_b64 v[0:1], v53, s[2:3] offset:16
	s_mov_b32 s7, exec_lo
	s_mov_b32 s6, exec_lo
	v_mbcnt_lo_u32_b32 v2, s7, 0
	s_wait_xcnt 0x0
	s_delay_alu instid0(VALU_DEP_1)
	v_cmpx_eq_u32_e32 0, v2
	s_cbranch_execz .LBB3_393
; %bb.392:                              ;   in Loop: Header=BB3_3 Depth=1
	s_bcnt1_i32_b32 s7, s7
	s_delay_alu instid0(SALU_CYCLE_1)
	v_mov_b32_e32 v52, s7
	global_wb scope:SCOPE_SYS
	s_wait_loadcnt 0x0
	s_wait_storecnt 0x0
	global_atomic_add_u64 v[0:1], v[52:53], off offset:8 scope:SCOPE_SYS
.LBB3_393:                              ;   in Loop: Header=BB3_3 Depth=1
	s_wait_xcnt 0x0
	s_or_b32 exec_lo, exec_lo, s6
	s_wait_loadcnt 0x0
	global_load_b64 v[2:3], v[0:1], off offset:16
	s_wait_loadcnt 0x0
	v_cmp_eq_u64_e32 vcc_lo, 0, v[2:3]
	s_cbranch_vccnz .LBB3_395
; %bb.394:                              ;   in Loop: Header=BB3_3 Depth=1
	global_load_b32 v52, v[0:1], off offset:24
	s_wait_loadcnt 0x0
	v_readfirstlane_b32 s6, v52
	global_wb scope:SCOPE_SYS
	s_wait_storecnt 0x0
	s_wait_xcnt 0x0
	global_store_b64 v[2:3], v[52:53], off scope:SCOPE_SYS
	s_and_b32 m0, s6, 0xffffff
	s_sendmsg sendmsg(MSG_INTERRUPT)
.LBB3_395:                              ;   in Loop: Header=BB3_3 Depth=1
	s_wait_xcnt 0x0
	s_or_b32 exec_lo, exec_lo, s1
	v_mov_b32_e32 v23, v53
	s_delay_alu instid0(VALU_DEP_1)
	v_add_nc_u64_e32 v[0:1], v[6:7], v[22:23]
	s_branch .LBB3_399
.LBB3_396:                              ;   in Loop: Header=BB3_399 Depth=2
	s_wait_xcnt 0x0
	s_or_b32 exec_lo, exec_lo, s1
	s_delay_alu instid0(VALU_DEP_1)
	v_readfirstlane_b32 s1, v2
	s_cmp_eq_u32 s1, 0
	s_cbranch_scc1 .LBB3_398
; %bb.397:                              ;   in Loop: Header=BB3_399 Depth=2
	s_sleep 1
	s_cbranch_execnz .LBB3_399
	s_branch .LBB3_401
.LBB3_398:                              ;   in Loop: Header=BB3_3 Depth=1
	s_branch .LBB3_401
.LBB3_399:                              ;   Parent Loop BB3_3 Depth=1
                                        ; =>  This Inner Loop Header: Depth=2
	v_mov_b32_e32 v2, 1
	s_and_saveexec_b32 s1, s0
	s_cbranch_execz .LBB3_396
; %bb.400:                              ;   in Loop: Header=BB3_399 Depth=2
	global_load_b32 v2, v[8:9], off offset:20 scope:SCOPE_SYS
	s_wait_loadcnt 0x0
	global_inv scope:SCOPE_SYS
	v_and_b32_e32 v2, 1, v2
	s_branch .LBB3_396
.LBB3_401:                              ;   in Loop: Header=BB3_3 Depth=1
	global_load_b64 v[2:3], v[0:1], off
	s_wait_xcnt 0x0
	s_and_saveexec_b32 s6, s0
	s_cbranch_execz .LBB3_405
; %bb.402:                              ;   in Loop: Header=BB3_3 Depth=1
	s_clause 0x2
	global_load_b64 v[0:1], v53, s[2:3] offset:40
	global_load_b64 v[8:9], v53, s[2:3] offset:24 scope:SCOPE_SYS
	global_load_b64 v[4:5], v53, s[2:3]
	s_wait_loadcnt 0x2
	v_readfirstlane_b32 s8, v0
	v_readfirstlane_b32 s9, v1
	s_add_nc_u64 s[0:1], s[8:9], 1
	s_delay_alu instid0(SALU_CYCLE_1) | instskip(NEXT) | instid1(SALU_CYCLE_1)
	s_add_nc_u64 s[4:5], s[0:1], s[4:5]
	s_cmp_eq_u64 s[4:5], 0
	s_cselect_b32 s1, s1, s5
	s_cselect_b32 s0, s0, s4
	s_delay_alu instid0(SALU_CYCLE_1) | instskip(SKIP_1) | instid1(SALU_CYCLE_1)
	v_dual_mov_b32 v7, s1 :: v_dual_mov_b32 v6, s0
	s_and_b64 s[4:5], s[0:1], s[8:9]
	s_mul_u64 s[4:5], s[4:5], 24
	s_wait_loadcnt 0x0
	v_add_nc_u64_e32 v[0:1], s[4:5], v[4:5]
	global_store_b64 v[0:1], v[8:9], off
	global_wb scope:SCOPE_SYS
	s_wait_storecnt 0x0
	s_wait_xcnt 0x0
	global_atomic_cmpswap_b64 v[6:7], v53, v[6:9], s[2:3] offset:24 th:TH_ATOMIC_RETURN scope:SCOPE_SYS
	s_wait_loadcnt 0x0
	v_cmp_ne_u64_e32 vcc_lo, v[6:7], v[8:9]
	s_and_b32 exec_lo, exec_lo, vcc_lo
	s_cbranch_execz .LBB3_405
; %bb.403:                              ;   in Loop: Header=BB3_3 Depth=1
	s_mov_b32 s4, 0
.LBB3_404:                              ;   Parent Loop BB3_3 Depth=1
                                        ; =>  This Inner Loop Header: Depth=2
	v_dual_mov_b32 v4, s0 :: v_dual_mov_b32 v5, s1
	s_sleep 1
	global_store_b64 v[0:1], v[6:7], off
	global_wb scope:SCOPE_SYS
	s_wait_storecnt 0x0
	s_wait_xcnt 0x0
	global_atomic_cmpswap_b64 v[4:5], v53, v[4:7], s[2:3] offset:24 th:TH_ATOMIC_RETURN scope:SCOPE_SYS
	s_wait_loadcnt 0x0
	v_cmp_eq_u64_e32 vcc_lo, v[4:5], v[6:7]
	v_mov_b64_e32 v[6:7], v[4:5]
	s_or_b32 s4, vcc_lo, s4
	s_delay_alu instid0(SALU_CYCLE_1)
	s_and_not1_b32 exec_lo, exec_lo, s4
	s_cbranch_execnz .LBB3_404
.LBB3_405:                              ;   in Loop: Header=BB3_3 Depth=1
	s_or_b32 exec_lo, exec_lo, s6
.LBB3_406:                              ;   in Loop: Header=BB3_3 Depth=1
	v_readfirstlane_b32 s0, v80
	s_wait_loadcnt 0x0
	v_mov_b64_e32 v[0:1], 0
	s_delay_alu instid0(VALU_DEP_2)
	v_cmp_eq_u32_e64 s0, s0, v80
	s_and_saveexec_b32 s1, s0
	s_cbranch_execz .LBB3_412
; %bb.407:                              ;   in Loop: Header=BB3_3 Depth=1
	global_load_b64 v[6:7], v53, s[2:3] offset:24 scope:SCOPE_SYS
	s_wait_loadcnt 0x0
	global_inv scope:SCOPE_SYS
	s_clause 0x1
	global_load_b64 v[0:1], v53, s[2:3] offset:40
	global_load_b64 v[4:5], v53, s[2:3]
	s_mov_b32 s4, exec_lo
	s_wait_loadcnt 0x1
	v_and_b32_e32 v0, v0, v6
	v_and_b32_e32 v1, v1, v7
	s_delay_alu instid0(VALU_DEP_1) | instskip(SKIP_1) | instid1(VALU_DEP_1)
	v_mul_u64_e32 v[0:1], 24, v[0:1]
	s_wait_loadcnt 0x0
	v_add_nc_u64_e32 v[0:1], v[4:5], v[0:1]
	global_load_b64 v[4:5], v[0:1], off scope:SCOPE_SYS
	s_wait_xcnt 0x0
	s_wait_loadcnt 0x0
	global_atomic_cmpswap_b64 v[0:1], v53, v[4:7], s[2:3] offset:24 th:TH_ATOMIC_RETURN scope:SCOPE_SYS
	s_wait_loadcnt 0x0
	global_inv scope:SCOPE_SYS
	s_wait_xcnt 0x0
	v_cmpx_ne_u64_e64 v[0:1], v[6:7]
	s_cbranch_execz .LBB3_411
; %bb.408:                              ;   in Loop: Header=BB3_3 Depth=1
	s_mov_b32 s5, 0
.LBB3_409:                              ;   Parent Loop BB3_3 Depth=1
                                        ; =>  This Inner Loop Header: Depth=2
	s_sleep 1
	s_clause 0x1
	global_load_b64 v[4:5], v53, s[2:3] offset:40
	global_load_b64 v[8:9], v53, s[2:3]
	v_mov_b64_e32 v[6:7], v[0:1]
	s_wait_loadcnt 0x1
	s_delay_alu instid0(VALU_DEP_1) | instskip(NEXT) | instid1(VALU_DEP_2)
	v_and_b32_e32 v0, v4, v6
	v_and_b32_e32 v4, v5, v7
	s_wait_loadcnt 0x0
	s_delay_alu instid0(VALU_DEP_2) | instskip(NEXT) | instid1(VALU_DEP_1)
	v_mad_nc_u64_u32 v[0:1], v0, 24, v[8:9]
	v_mad_u32 v1, v4, 24, v1
	global_load_b64 v[4:5], v[0:1], off scope:SCOPE_SYS
	s_wait_xcnt 0x0
	s_wait_loadcnt 0x0
	global_atomic_cmpswap_b64 v[0:1], v53, v[4:7], s[2:3] offset:24 th:TH_ATOMIC_RETURN scope:SCOPE_SYS
	s_wait_loadcnt 0x0
	global_inv scope:SCOPE_SYS
	v_cmp_eq_u64_e32 vcc_lo, v[0:1], v[6:7]
	s_or_b32 s5, vcc_lo, s5
	s_wait_xcnt 0x0
	s_and_not1_b32 exec_lo, exec_lo, s5
	s_cbranch_execnz .LBB3_409
; %bb.410:                              ;   in Loop: Header=BB3_3 Depth=1
	s_or_b32 exec_lo, exec_lo, s5
.LBB3_411:                              ;   in Loop: Header=BB3_3 Depth=1
	s_delay_alu instid0(SALU_CYCLE_1)
	s_or_b32 exec_lo, exec_lo, s4
.LBB3_412:                              ;   in Loop: Header=BB3_3 Depth=1
	s_delay_alu instid0(SALU_CYCLE_1)
	s_or_b32 exec_lo, exec_lo, s1
	s_clause 0x1
	global_load_b64 v[4:5], v53, s[2:3] offset:40
	global_load_b128 v[6:9], v53, s[2:3]
	v_readfirstlane_b32 s4, v0
	v_readfirstlane_b32 s5, v1
	s_mov_b32 s1, exec_lo
	s_wait_loadcnt 0x1
	v_and_b32_e32 v0, s4, v4
	v_and_b32_e32 v1, s5, v5
	s_delay_alu instid0(VALU_DEP_1) | instskip(SKIP_1) | instid1(VALU_DEP_1)
	v_mul_u64_e32 v[4:5], 24, v[0:1]
	s_wait_loadcnt 0x0
	v_add_nc_u64_e32 v[10:11], v[6:7], v[4:5]
	s_wait_xcnt 0x0
	s_and_saveexec_b32 s6, s0
	s_cbranch_execz .LBB3_414
; %bb.413:                              ;   in Loop: Header=BB3_3 Depth=1
	v_mov_b32_e32 v52, s1
	global_store_b128 v[10:11], v[52:55], off offset:8
.LBB3_414:                              ;   in Loop: Header=BB3_3 Depth=1
	s_wait_xcnt 0x0
	s_or_b32 exec_lo, exec_lo, s6
	v_lshlrev_b64_e32 v[0:1], 12, v[0:1]
	s_mov_b32 s17, s16
	s_mov_b32 s18, s16
	s_mov_b32 s19, s16
	v_mov_b64_e32 v[12:13], s[16:17]
	v_mov_b64_e32 v[14:15], s[18:19]
	v_and_or_b32 v2, 0xffffff1f, v2, 32
	v_add_nc_u64_e32 v[8:9], v[8:9], v[0:1]
	v_dual_mov_b32 v4, v50 :: v_dual_mov_b32 v5, v51
	s_delay_alu instid0(VALU_DEP_2) | instskip(NEXT) | instid1(VALU_DEP_3)
	v_readfirstlane_b32 s6, v8
	v_readfirstlane_b32 s7, v9
	s_clause 0x3
	global_store_b128 v22, v[2:5], s[6:7]
	global_store_b128 v22, v[12:15], s[6:7] offset:16
	global_store_b128 v22, v[12:15], s[6:7] offset:32
	;; [unrolled: 1-line block ×3, first 2 shown]
	s_wait_xcnt 0x0
	s_and_saveexec_b32 s1, s0
	s_cbranch_execz .LBB3_422
; %bb.415:                              ;   in Loop: Header=BB3_3 Depth=1
	s_clause 0x1
	global_load_b64 v[14:15], v53, s[2:3] offset:32 scope:SCOPE_SYS
	global_load_b64 v[0:1], v53, s[2:3] offset:40
	s_mov_b32 s6, exec_lo
	v_dual_mov_b32 v12, s4 :: v_dual_mov_b32 v13, s5
	s_wait_loadcnt 0x0
	v_and_b32_e32 v1, s5, v1
	v_and_b32_e32 v0, s4, v0
	s_delay_alu instid0(VALU_DEP_1) | instskip(NEXT) | instid1(VALU_DEP_1)
	v_mul_u64_e32 v[0:1], 24, v[0:1]
	v_add_nc_u64_e32 v[4:5], v[6:7], v[0:1]
	global_store_b64 v[4:5], v[14:15], off
	global_wb scope:SCOPE_SYS
	s_wait_storecnt 0x0
	s_wait_xcnt 0x0
	global_atomic_cmpswap_b64 v[2:3], v53, v[12:15], s[2:3] offset:32 th:TH_ATOMIC_RETURN scope:SCOPE_SYS
	s_wait_loadcnt 0x0
	v_cmpx_ne_u64_e64 v[2:3], v[14:15]
	s_cbranch_execz .LBB3_418
; %bb.416:                              ;   in Loop: Header=BB3_3 Depth=1
	s_mov_b32 s7, 0
.LBB3_417:                              ;   Parent Loop BB3_3 Depth=1
                                        ; =>  This Inner Loop Header: Depth=2
	v_dual_mov_b32 v0, s4 :: v_dual_mov_b32 v1, s5
	s_sleep 1
	global_store_b64 v[4:5], v[2:3], off
	global_wb scope:SCOPE_SYS
	s_wait_storecnt 0x0
	s_wait_xcnt 0x0
	global_atomic_cmpswap_b64 v[0:1], v53, v[0:3], s[2:3] offset:32 th:TH_ATOMIC_RETURN scope:SCOPE_SYS
	s_wait_loadcnt 0x0
	v_cmp_eq_u64_e32 vcc_lo, v[0:1], v[2:3]
	v_mov_b64_e32 v[2:3], v[0:1]
	s_or_b32 s7, vcc_lo, s7
	s_delay_alu instid0(SALU_CYCLE_1)
	s_and_not1_b32 exec_lo, exec_lo, s7
	s_cbranch_execnz .LBB3_417
.LBB3_418:                              ;   in Loop: Header=BB3_3 Depth=1
	s_or_b32 exec_lo, exec_lo, s6
	global_load_b64 v[0:1], v53, s[2:3] offset:16
	s_mov_b32 s7, exec_lo
	s_mov_b32 s6, exec_lo
	v_mbcnt_lo_u32_b32 v2, s7, 0
	s_wait_xcnt 0x0
	s_delay_alu instid0(VALU_DEP_1)
	v_cmpx_eq_u32_e32 0, v2
	s_cbranch_execz .LBB3_420
; %bb.419:                              ;   in Loop: Header=BB3_3 Depth=1
	s_bcnt1_i32_b32 s7, s7
	s_delay_alu instid0(SALU_CYCLE_1)
	v_mov_b32_e32 v52, s7
	global_wb scope:SCOPE_SYS
	s_wait_loadcnt 0x0
	s_wait_storecnt 0x0
	global_atomic_add_u64 v[0:1], v[52:53], off offset:8 scope:SCOPE_SYS
.LBB3_420:                              ;   in Loop: Header=BB3_3 Depth=1
	s_wait_xcnt 0x0
	s_or_b32 exec_lo, exec_lo, s6
	s_wait_loadcnt 0x0
	global_load_b64 v[2:3], v[0:1], off offset:16
	s_wait_loadcnt 0x0
	v_cmp_eq_u64_e32 vcc_lo, 0, v[2:3]
	s_cbranch_vccnz .LBB3_422
; %bb.421:                              ;   in Loop: Header=BB3_3 Depth=1
	global_load_b32 v52, v[0:1], off offset:24
	s_wait_loadcnt 0x0
	v_readfirstlane_b32 s6, v52
	global_wb scope:SCOPE_SYS
	s_wait_storecnt 0x0
	s_wait_xcnt 0x0
	global_store_b64 v[2:3], v[52:53], off scope:SCOPE_SYS
	s_and_b32 m0, s6, 0xffffff
	s_sendmsg sendmsg(MSG_INTERRUPT)
.LBB3_422:                              ;   in Loop: Header=BB3_3 Depth=1
	s_wait_xcnt 0x0
	s_or_b32 exec_lo, exec_lo, s1
	v_mov_b32_e32 v23, v53
	s_delay_alu instid0(VALU_DEP_1)
	v_add_nc_u64_e32 v[0:1], v[8:9], v[22:23]
	s_branch .LBB3_426
.LBB3_423:                              ;   in Loop: Header=BB3_426 Depth=2
	s_wait_xcnt 0x0
	s_or_b32 exec_lo, exec_lo, s1
	s_delay_alu instid0(VALU_DEP_1)
	v_readfirstlane_b32 s1, v2
	s_cmp_eq_u32 s1, 0
	s_cbranch_scc1 .LBB3_425
; %bb.424:                              ;   in Loop: Header=BB3_426 Depth=2
	s_sleep 1
	s_cbranch_execnz .LBB3_426
	s_branch .LBB3_428
.LBB3_425:                              ;   in Loop: Header=BB3_3 Depth=1
	s_branch .LBB3_428
.LBB3_426:                              ;   Parent Loop BB3_3 Depth=1
                                        ; =>  This Inner Loop Header: Depth=2
	v_mov_b32_e32 v2, 1
	s_and_saveexec_b32 s1, s0
	s_cbranch_execz .LBB3_423
; %bb.427:                              ;   in Loop: Header=BB3_426 Depth=2
	global_load_b32 v2, v[10:11], off offset:20 scope:SCOPE_SYS
	s_wait_loadcnt 0x0
	global_inv scope:SCOPE_SYS
	v_and_b32_e32 v2, 1, v2
	s_branch .LBB3_423
.LBB3_428:                              ;   in Loop: Header=BB3_3 Depth=1
	global_load_b64 v[48:49], v[0:1], off
	s_wait_xcnt 0x0
	s_and_saveexec_b32 s6, s0
	s_cbranch_execz .LBB3_432
; %bb.429:                              ;   in Loop: Header=BB3_3 Depth=1
	s_clause 0x2
	global_load_b64 v[0:1], v53, s[2:3] offset:40
	global_load_b64 v[8:9], v53, s[2:3] offset:24 scope:SCOPE_SYS
	global_load_b64 v[2:3], v53, s[2:3]
	s_wait_loadcnt 0x2
	v_readfirstlane_b32 s8, v0
	v_readfirstlane_b32 s9, v1
	s_add_nc_u64 s[0:1], s[8:9], 1
	s_delay_alu instid0(SALU_CYCLE_1) | instskip(NEXT) | instid1(SALU_CYCLE_1)
	s_add_nc_u64 s[4:5], s[0:1], s[4:5]
	s_cmp_eq_u64 s[4:5], 0
	s_cselect_b32 s1, s1, s5
	s_cselect_b32 s0, s0, s4
	s_delay_alu instid0(SALU_CYCLE_1) | instskip(SKIP_1) | instid1(SALU_CYCLE_1)
	v_dual_mov_b32 v7, s1 :: v_dual_mov_b32 v6, s0
	s_and_b64 s[4:5], s[0:1], s[8:9]
	s_mul_u64 s[4:5], s[4:5], 24
	s_wait_loadcnt 0x0
	v_add_nc_u64_e32 v[4:5], s[4:5], v[2:3]
	global_store_b64 v[4:5], v[8:9], off
	global_wb scope:SCOPE_SYS
	s_wait_storecnt 0x0
	s_wait_xcnt 0x0
	global_atomic_cmpswap_b64 v[2:3], v53, v[6:9], s[2:3] offset:24 th:TH_ATOMIC_RETURN scope:SCOPE_SYS
	s_wait_loadcnt 0x0
	v_cmp_ne_u64_e32 vcc_lo, v[2:3], v[8:9]
	s_and_b32 exec_lo, exec_lo, vcc_lo
	s_cbranch_execz .LBB3_432
; %bb.430:                              ;   in Loop: Header=BB3_3 Depth=1
	s_mov_b32 s4, 0
.LBB3_431:                              ;   Parent Loop BB3_3 Depth=1
                                        ; =>  This Inner Loop Header: Depth=2
	v_dual_mov_b32 v0, s0 :: v_dual_mov_b32 v1, s1
	s_sleep 1
	global_store_b64 v[4:5], v[2:3], off
	global_wb scope:SCOPE_SYS
	s_wait_storecnt 0x0
	s_wait_xcnt 0x0
	global_atomic_cmpswap_b64 v[0:1], v53, v[0:3], s[2:3] offset:24 th:TH_ATOMIC_RETURN scope:SCOPE_SYS
	s_wait_loadcnt 0x0
	v_cmp_eq_u64_e32 vcc_lo, v[0:1], v[2:3]
	v_mov_b64_e32 v[2:3], v[0:1]
	s_or_b32 s4, vcc_lo, s4
	s_delay_alu instid0(SALU_CYCLE_1)
	s_and_not1_b32 exec_lo, exec_lo, s4
	s_cbranch_execnz .LBB3_431
.LBB3_432:                              ;   in Loop: Header=BB3_3 Depth=1
	s_or_b32 exec_lo, exec_lo, s6
	v_readfirstlane_b32 s0, v80
	v_mov_b64_e32 v[4:5], 0
	s_delay_alu instid0(VALU_DEP_2)
	v_cmp_eq_u32_e64 s0, s0, v80
	s_and_saveexec_b32 s1, s0
	s_cbranch_execz .LBB3_438
; %bb.433:                              ;   in Loop: Header=BB3_3 Depth=1
	global_load_b64 v[2:3], v53, s[2:3] offset:24 scope:SCOPE_SYS
	s_wait_loadcnt 0x0
	global_inv scope:SCOPE_SYS
	s_clause 0x1
	global_load_b64 v[0:1], v53, s[2:3] offset:40
	global_load_b64 v[4:5], v53, s[2:3]
	s_mov_b32 s4, exec_lo
	s_wait_loadcnt 0x1
	v_and_b32_e32 v0, v0, v2
	v_and_b32_e32 v1, v1, v3
	s_delay_alu instid0(VALU_DEP_1) | instskip(SKIP_1) | instid1(VALU_DEP_1)
	v_mul_u64_e32 v[0:1], 24, v[0:1]
	s_wait_loadcnt 0x0
	v_add_nc_u64_e32 v[0:1], v[4:5], v[0:1]
	global_load_b64 v[0:1], v[0:1], off scope:SCOPE_SYS
	s_wait_xcnt 0x0
	s_wait_loadcnt 0x0
	global_atomic_cmpswap_b64 v[4:5], v53, v[0:3], s[2:3] offset:24 th:TH_ATOMIC_RETURN scope:SCOPE_SYS
	s_wait_loadcnt 0x0
	global_inv scope:SCOPE_SYS
	s_wait_xcnt 0x0
	v_cmpx_ne_u64_e64 v[4:5], v[2:3]
	s_cbranch_execz .LBB3_437
; %bb.434:                              ;   in Loop: Header=BB3_3 Depth=1
	s_mov_b32 s5, 0
.LBB3_435:                              ;   Parent Loop BB3_3 Depth=1
                                        ; =>  This Inner Loop Header: Depth=2
	s_sleep 1
	s_clause 0x1
	global_load_b64 v[0:1], v53, s[2:3] offset:40
	global_load_b64 v[6:7], v53, s[2:3]
	v_mov_b64_e32 v[2:3], v[4:5]
	s_wait_loadcnt 0x1
	s_delay_alu instid0(VALU_DEP_1) | instskip(SKIP_1) | instid1(VALU_DEP_1)
	v_and_b32_e32 v0, v0, v2
	s_wait_loadcnt 0x0
	v_mad_nc_u64_u32 v[4:5], v0, 24, v[6:7]
	s_delay_alu instid0(VALU_DEP_3) | instskip(NEXT) | instid1(VALU_DEP_1)
	v_and_b32_e32 v0, v1, v3
	v_mad_u32 v5, v0, 24, v5
	global_load_b64 v[0:1], v[4:5], off scope:SCOPE_SYS
	s_wait_xcnt 0x0
	s_wait_loadcnt 0x0
	global_atomic_cmpswap_b64 v[4:5], v53, v[0:3], s[2:3] offset:24 th:TH_ATOMIC_RETURN scope:SCOPE_SYS
	s_wait_loadcnt 0x0
	global_inv scope:SCOPE_SYS
	v_cmp_eq_u64_e32 vcc_lo, v[4:5], v[2:3]
	s_or_b32 s5, vcc_lo, s5
	s_wait_xcnt 0x0
	s_and_not1_b32 exec_lo, exec_lo, s5
	s_cbranch_execnz .LBB3_435
; %bb.436:                              ;   in Loop: Header=BB3_3 Depth=1
	s_or_b32 exec_lo, exec_lo, s5
.LBB3_437:                              ;   in Loop: Header=BB3_3 Depth=1
	s_delay_alu instid0(SALU_CYCLE_1)
	s_or_b32 exec_lo, exec_lo, s4
.LBB3_438:                              ;   in Loop: Header=BB3_3 Depth=1
	s_delay_alu instid0(SALU_CYCLE_1)
	s_or_b32 exec_lo, exec_lo, s1
	s_clause 0x1
	global_load_b64 v[6:7], v53, s[2:3] offset:40
	global_load_b128 v[0:3], v53, s[2:3]
	v_readfirstlane_b32 s4, v4
	v_readfirstlane_b32 s5, v5
	s_mov_b32 s1, exec_lo
	s_wait_loadcnt 0x1
	v_and_b32_e32 v6, s4, v6
	v_and_b32_e32 v7, s5, v7
	s_delay_alu instid0(VALU_DEP_1) | instskip(SKIP_1) | instid1(VALU_DEP_1)
	v_mul_u64_e32 v[4:5], 24, v[6:7]
	s_wait_loadcnt 0x0
	v_add_nc_u64_e32 v[4:5], v[0:1], v[4:5]
	s_wait_xcnt 0x0
	s_and_saveexec_b32 s6, s0
	s_cbranch_execz .LBB3_440
; %bb.439:                              ;   in Loop: Header=BB3_3 Depth=1
	v_mov_b32_e32 v52, s1
	global_store_b128 v[4:5], v[52:55], off offset:8
.LBB3_440:                              ;   in Loop: Header=BB3_3 Depth=1
	s_wait_xcnt 0x0
	s_or_b32 exec_lo, exec_lo, s6
	v_lshlrev_b64_e32 v[6:7], 12, v[6:7]
	s_mov_b32 s17, s16
	s_mov_b32 s18, s16
	;; [unrolled: 1-line block ×3, first 2 shown]
	v_mov_b64_e32 v[8:9], s[16:17]
	v_mov_b64_e32 v[10:11], s[18:19]
	v_and_or_b32 v48, 0xffffff1f, v48, 32
	v_add_nc_u64_e32 v[6:7], v[2:3], v[6:7]
	s_delay_alu instid0(VALU_DEP_1) | instskip(NEXT) | instid1(VALU_DEP_2)
	v_readfirstlane_b32 s6, v6
	v_readfirstlane_b32 s7, v7
	s_clause 0x3
	global_store_b128 v22, v[48:51], s[6:7]
	global_store_b128 v22, v[8:11], s[6:7] offset:16
	global_store_b128 v22, v[8:11], s[6:7] offset:32
	;; [unrolled: 1-line block ×3, first 2 shown]
	s_wait_xcnt 0x0
	s_and_saveexec_b32 s1, s0
	s_cbranch_execz .LBB3_448
; %bb.441:                              ;   in Loop: Header=BB3_3 Depth=1
	s_clause 0x1
	global_load_b64 v[12:13], v53, s[2:3] offset:32 scope:SCOPE_SYS
	global_load_b64 v[2:3], v53, s[2:3] offset:40
	s_mov_b32 s6, exec_lo
	v_dual_mov_b32 v10, s4 :: v_dual_mov_b32 v11, s5
	s_wait_loadcnt 0x0
	v_and_b32_e32 v3, s5, v3
	v_and_b32_e32 v2, s4, v2
	s_delay_alu instid0(VALU_DEP_1) | instskip(NEXT) | instid1(VALU_DEP_1)
	v_mul_u64_e32 v[2:3], 24, v[2:3]
	v_add_nc_u64_e32 v[8:9], v[0:1], v[2:3]
	global_store_b64 v[8:9], v[12:13], off
	global_wb scope:SCOPE_SYS
	s_wait_storecnt 0x0
	s_wait_xcnt 0x0
	global_atomic_cmpswap_b64 v[2:3], v53, v[10:13], s[2:3] offset:32 th:TH_ATOMIC_RETURN scope:SCOPE_SYS
	s_wait_loadcnt 0x0
	v_cmpx_ne_u64_e64 v[2:3], v[12:13]
	s_cbranch_execz .LBB3_444
; %bb.442:                              ;   in Loop: Header=BB3_3 Depth=1
	s_mov_b32 s7, 0
.LBB3_443:                              ;   Parent Loop BB3_3 Depth=1
                                        ; =>  This Inner Loop Header: Depth=2
	v_dual_mov_b32 v0, s4 :: v_dual_mov_b32 v1, s5
	s_sleep 1
	global_store_b64 v[8:9], v[2:3], off
	global_wb scope:SCOPE_SYS
	s_wait_storecnt 0x0
	s_wait_xcnt 0x0
	global_atomic_cmpswap_b64 v[0:1], v53, v[0:3], s[2:3] offset:32 th:TH_ATOMIC_RETURN scope:SCOPE_SYS
	s_wait_loadcnt 0x0
	v_cmp_eq_u64_e32 vcc_lo, v[0:1], v[2:3]
	v_mov_b64_e32 v[2:3], v[0:1]
	s_or_b32 s7, vcc_lo, s7
	s_delay_alu instid0(SALU_CYCLE_1)
	s_and_not1_b32 exec_lo, exec_lo, s7
	s_cbranch_execnz .LBB3_443
.LBB3_444:                              ;   in Loop: Header=BB3_3 Depth=1
	s_or_b32 exec_lo, exec_lo, s6
	global_load_b64 v[0:1], v53, s[2:3] offset:16
	s_mov_b32 s7, exec_lo
	s_mov_b32 s6, exec_lo
	v_mbcnt_lo_u32_b32 v2, s7, 0
	s_wait_xcnt 0x0
	s_delay_alu instid0(VALU_DEP_1)
	v_cmpx_eq_u32_e32 0, v2
	s_cbranch_execz .LBB3_446
; %bb.445:                              ;   in Loop: Header=BB3_3 Depth=1
	s_bcnt1_i32_b32 s7, s7
	s_delay_alu instid0(SALU_CYCLE_1)
	v_mov_b32_e32 v52, s7
	global_wb scope:SCOPE_SYS
	s_wait_loadcnt 0x0
	s_wait_storecnt 0x0
	global_atomic_add_u64 v[0:1], v[52:53], off offset:8 scope:SCOPE_SYS
.LBB3_446:                              ;   in Loop: Header=BB3_3 Depth=1
	s_wait_xcnt 0x0
	s_or_b32 exec_lo, exec_lo, s6
	s_wait_loadcnt 0x0
	global_load_b64 v[2:3], v[0:1], off offset:16
	s_wait_loadcnt 0x0
	v_cmp_eq_u64_e32 vcc_lo, 0, v[2:3]
	s_cbranch_vccnz .LBB3_448
; %bb.447:                              ;   in Loop: Header=BB3_3 Depth=1
	global_load_b32 v52, v[0:1], off offset:24
	s_wait_loadcnt 0x0
	v_readfirstlane_b32 s6, v52
	global_wb scope:SCOPE_SYS
	s_wait_storecnt 0x0
	s_wait_xcnt 0x0
	global_store_b64 v[2:3], v[52:53], off scope:SCOPE_SYS
	s_and_b32 m0, s6, 0xffffff
	s_sendmsg sendmsg(MSG_INTERRUPT)
.LBB3_448:                              ;   in Loop: Header=BB3_3 Depth=1
	s_wait_xcnt 0x0
	s_or_b32 exec_lo, exec_lo, s1
	v_mov_b32_e32 v23, v53
	s_delay_alu instid0(VALU_DEP_1)
	v_add_nc_u64_e32 v[0:1], v[6:7], v[22:23]
	s_branch .LBB3_452
.LBB3_449:                              ;   in Loop: Header=BB3_452 Depth=2
	s_wait_xcnt 0x0
	s_or_b32 exec_lo, exec_lo, s1
	s_delay_alu instid0(VALU_DEP_1)
	v_readfirstlane_b32 s1, v2
	s_cmp_eq_u32 s1, 0
	s_cbranch_scc1 .LBB3_451
; %bb.450:                              ;   in Loop: Header=BB3_452 Depth=2
	s_sleep 1
	s_cbranch_execnz .LBB3_452
	s_branch .LBB3_454
.LBB3_451:                              ;   in Loop: Header=BB3_3 Depth=1
	s_branch .LBB3_454
.LBB3_452:                              ;   Parent Loop BB3_3 Depth=1
                                        ; =>  This Inner Loop Header: Depth=2
	v_mov_b32_e32 v2, 1
	s_and_saveexec_b32 s1, s0
	s_cbranch_execz .LBB3_449
; %bb.453:                              ;   in Loop: Header=BB3_452 Depth=2
	global_load_b32 v2, v[4:5], off offset:20 scope:SCOPE_SYS
	s_wait_loadcnt 0x0
	global_inv scope:SCOPE_SYS
	v_and_b32_e32 v2, 1, v2
	s_branch .LBB3_449
.LBB3_454:                              ;   in Loop: Header=BB3_3 Depth=1
	global_load_b64 v[0:1], v[0:1], off
	s_wait_xcnt 0x0
	s_and_saveexec_b32 s6, s0
	s_cbranch_execz .LBB3_458
; %bb.455:                              ;   in Loop: Header=BB3_3 Depth=1
	s_clause 0x2
	global_load_b64 v[2:3], v53, s[2:3] offset:40
	global_load_b64 v[10:11], v53, s[2:3] offset:24 scope:SCOPE_SYS
	global_load_b64 v[4:5], v53, s[2:3]
	s_wait_loadcnt 0x2
	v_readfirstlane_b32 s8, v2
	v_readfirstlane_b32 s9, v3
	s_add_nc_u64 s[0:1], s[8:9], 1
	s_delay_alu instid0(SALU_CYCLE_1) | instskip(NEXT) | instid1(SALU_CYCLE_1)
	s_add_nc_u64 s[4:5], s[0:1], s[4:5]
	s_cmp_eq_u64 s[4:5], 0
	s_cselect_b32 s1, s1, s5
	s_cselect_b32 s0, s0, s4
	s_delay_alu instid0(SALU_CYCLE_1) | instskip(SKIP_1) | instid1(SALU_CYCLE_1)
	v_dual_mov_b32 v9, s1 :: v_dual_mov_b32 v8, s0
	s_and_b64 s[4:5], s[0:1], s[8:9]
	s_mul_u64 s[4:5], s[4:5], 24
	s_wait_loadcnt 0x0
	v_add_nc_u64_e32 v[6:7], s[4:5], v[4:5]
	global_store_b64 v[6:7], v[10:11], off
	global_wb scope:SCOPE_SYS
	s_wait_storecnt 0x0
	s_wait_xcnt 0x0
	global_atomic_cmpswap_b64 v[4:5], v53, v[8:11], s[2:3] offset:24 th:TH_ATOMIC_RETURN scope:SCOPE_SYS
	s_wait_loadcnt 0x0
	v_cmp_ne_u64_e32 vcc_lo, v[4:5], v[10:11]
	s_and_b32 exec_lo, exec_lo, vcc_lo
	s_cbranch_execz .LBB3_458
; %bb.456:                              ;   in Loop: Header=BB3_3 Depth=1
	s_mov_b32 s4, 0
.LBB3_457:                              ;   Parent Loop BB3_3 Depth=1
                                        ; =>  This Inner Loop Header: Depth=2
	v_dual_mov_b32 v2, s0 :: v_dual_mov_b32 v3, s1
	s_sleep 1
	global_store_b64 v[6:7], v[4:5], off
	global_wb scope:SCOPE_SYS
	s_wait_storecnt 0x0
	s_wait_xcnt 0x0
	global_atomic_cmpswap_b64 v[2:3], v53, v[2:5], s[2:3] offset:24 th:TH_ATOMIC_RETURN scope:SCOPE_SYS
	s_wait_loadcnt 0x0
	v_cmp_eq_u64_e32 vcc_lo, v[2:3], v[4:5]
	v_mov_b64_e32 v[4:5], v[2:3]
	s_or_b32 s4, vcc_lo, s4
	s_delay_alu instid0(SALU_CYCLE_1)
	s_and_not1_b32 exec_lo, exec_lo, s4
	s_cbranch_execnz .LBB3_457
.LBB3_458:                              ;   in Loop: Header=BB3_3 Depth=1
	s_or_b32 exec_lo, exec_lo, s6
	v_readfirstlane_b32 s0, v80
	v_mov_b64_e32 v[2:3], 0
	s_delay_alu instid0(VALU_DEP_2)
	v_cmp_eq_u32_e64 s0, s0, v80
	s_and_saveexec_b32 s1, s0
	s_cbranch_execz .LBB3_464
; %bb.459:                              ;   in Loop: Header=BB3_3 Depth=1
	global_load_b64 v[4:5], v53, s[2:3] offset:24 scope:SCOPE_SYS
	s_wait_loadcnt 0x0
	global_inv scope:SCOPE_SYS
	s_clause 0x1
	global_load_b64 v[2:3], v53, s[2:3] offset:40
	global_load_b64 v[6:7], v53, s[2:3]
	s_mov_b32 s4, exec_lo
	s_wait_loadcnt 0x1
	v_and_b32_e32 v2, v2, v4
	v_and_b32_e32 v3, v3, v5
	s_delay_alu instid0(VALU_DEP_1) | instskip(SKIP_1) | instid1(VALU_DEP_1)
	v_mul_u64_e32 v[2:3], 24, v[2:3]
	s_wait_loadcnt 0x0
	v_add_nc_u64_e32 v[2:3], v[6:7], v[2:3]
	global_load_b64 v[2:3], v[2:3], off scope:SCOPE_SYS
	s_wait_xcnt 0x0
	s_wait_loadcnt 0x0
	global_atomic_cmpswap_b64 v[2:3], v53, v[2:5], s[2:3] offset:24 th:TH_ATOMIC_RETURN scope:SCOPE_SYS
	s_wait_loadcnt 0x0
	global_inv scope:SCOPE_SYS
	s_wait_xcnt 0x0
	v_cmpx_ne_u64_e64 v[2:3], v[4:5]
	s_cbranch_execz .LBB3_463
; %bb.460:                              ;   in Loop: Header=BB3_3 Depth=1
	s_mov_b32 s5, 0
.LBB3_461:                              ;   Parent Loop BB3_3 Depth=1
                                        ; =>  This Inner Loop Header: Depth=2
	s_sleep 1
	s_clause 0x1
	global_load_b64 v[6:7], v53, s[2:3] offset:40
	global_load_b64 v[8:9], v53, s[2:3]
	v_mov_b64_e32 v[4:5], v[2:3]
	s_wait_loadcnt 0x1
	s_delay_alu instid0(VALU_DEP_1) | instskip(NEXT) | instid1(VALU_DEP_2)
	v_and_b32_e32 v2, v6, v4
	v_and_b32_e32 v6, v7, v5
	s_wait_loadcnt 0x0
	s_delay_alu instid0(VALU_DEP_2) | instskip(NEXT) | instid1(VALU_DEP_1)
	v_mad_nc_u64_u32 v[2:3], v2, 24, v[8:9]
	v_mad_u32 v3, v6, 24, v3
	global_load_b64 v[2:3], v[2:3], off scope:SCOPE_SYS
	s_wait_xcnt 0x0
	s_wait_loadcnt 0x0
	global_atomic_cmpswap_b64 v[2:3], v53, v[2:5], s[2:3] offset:24 th:TH_ATOMIC_RETURN scope:SCOPE_SYS
	s_wait_loadcnt 0x0
	global_inv scope:SCOPE_SYS
	v_cmp_eq_u64_e32 vcc_lo, v[2:3], v[4:5]
	s_or_b32 s5, vcc_lo, s5
	s_wait_xcnt 0x0
	s_and_not1_b32 exec_lo, exec_lo, s5
	s_cbranch_execnz .LBB3_461
; %bb.462:                              ;   in Loop: Header=BB3_3 Depth=1
	s_or_b32 exec_lo, exec_lo, s5
.LBB3_463:                              ;   in Loop: Header=BB3_3 Depth=1
	s_delay_alu instid0(SALU_CYCLE_1)
	s_or_b32 exec_lo, exec_lo, s4
.LBB3_464:                              ;   in Loop: Header=BB3_3 Depth=1
	s_delay_alu instid0(SALU_CYCLE_1)
	s_or_b32 exec_lo, exec_lo, s1
	s_clause 0x1
	global_load_b64 v[8:9], v53, s[2:3] offset:40
	global_load_b128 v[4:7], v53, s[2:3]
	v_readfirstlane_b32 s4, v2
	v_readfirstlane_b32 s5, v3
	s_mov_b32 s1, exec_lo
	s_wait_loadcnt 0x1
	v_and_b32_e32 v10, s4, v8
	v_and_b32_e32 v11, s5, v9
	s_delay_alu instid0(VALU_DEP_1) | instskip(SKIP_1) | instid1(VALU_DEP_1)
	v_mul_u64_e32 v[2:3], 24, v[10:11]
	s_wait_loadcnt 0x0
	v_add_nc_u64_e32 v[8:9], v[4:5], v[2:3]
	s_wait_xcnt 0x0
	s_and_saveexec_b32 s6, s0
	s_cbranch_execz .LBB3_466
; %bb.465:                              ;   in Loop: Header=BB3_3 Depth=1
	v_mov_b32_e32 v52, s1
	global_store_b128 v[8:9], v[52:55], off offset:8
.LBB3_466:                              ;   in Loop: Header=BB3_3 Depth=1
	s_wait_xcnt 0x0
	s_or_b32 exec_lo, exec_lo, s6
	s_wait_dscnt 0x0
	v_mul_lo_u32 v2, v32, v30
	v_mul_lo_u32 v13, v30, v30
	v_lshlrev_b64_e32 v[10:11], 12, v[10:11]
	s_mov_b32 s17, s16
	s_mov_b32 s18, s16
	;; [unrolled: 1-line block ×3, first 2 shown]
	v_and_or_b32 v0, 0xffffff1f, v0, 32
	s_delay_alu instid0(VALU_DEP_2) | instskip(SKIP_3) | instid1(VALU_DEP_3)
	v_add_nc_u64_e32 v[10:11], v[6:7], v[10:11]
	v_cvt_f32_u32_e32 v3, v2
	v_mad_u32 v13, v32, v32, v13
	v_sub_nc_u32_e32 v12, 0, v2
	v_rcp_iflag_f32_e32 v3, v3
	s_delay_alu instid0(VALU_DEP_4) | instskip(SKIP_1) | instid1(TRANS32_DEP_1)
	v_readfirstlane_b32 s6, v10
	v_readfirstlane_b32 s7, v11
	v_mul_f32_e32 v3, 0x4f7ffffe, v3
	s_delay_alu instid0(VALU_DEP_1) | instskip(NEXT) | instid1(VALU_DEP_1)
	v_cvt_u32_f32_e32 v3, v3
	v_mul_lo_u32 v12, v12, v3
	s_delay_alu instid0(VALU_DEP_1) | instskip(NEXT) | instid1(VALU_DEP_1)
	v_mul_hi_u32 v12, v3, v12
	v_add_nc_u32_e32 v3, v3, v12
	s_delay_alu instid0(VALU_DEP_1) | instskip(NEXT) | instid1(VALU_DEP_1)
	v_mul_hi_u32 v3, v13, v3
	v_mul_lo_u32 v12, v3, v2
	s_delay_alu instid0(VALU_DEP_1) | instskip(NEXT) | instid1(VALU_DEP_1)
	v_dual_sub_nc_u32 v12, v13, v12 :: v_dual_add_nc_u32 v13, 1, v3
	v_sub_nc_u32_e32 v14, v12, v2
	v_cmp_ge_u32_e32 vcc_lo, v12, v2
	s_delay_alu instid0(VALU_DEP_2) | instskip(NEXT) | instid1(VALU_DEP_1)
	v_dual_cndmask_b32 v3, v3, v13 :: v_dual_cndmask_b32 v12, v12, v14
	v_add_nc_u32_e32 v13, 1, v3
	s_delay_alu instid0(VALU_DEP_2) | instskip(NEXT) | instid1(VALU_DEP_2)
	v_cmp_ge_u32_e32 vcc_lo, v12, v2
	v_cndmask_b32_e32 v2, v3, v13, vcc_lo
	v_mov_b64_e32 v[12:13], s[16:17]
	v_mov_b64_e32 v[14:15], s[18:19]
	s_delay_alu instid0(VALU_DEP_3) | instskip(NEXT) | instid1(VALU_DEP_1)
	v_cvt_f32_u32_e32 v2, v2
	v_cvt_f64_f32_e32 v[2:3], v2
	s_clause 0x3
	global_store_b128 v22, v[0:3], s[6:7]
	global_store_b128 v22, v[12:15], s[6:7] offset:16
	global_store_b128 v22, v[12:15], s[6:7] offset:32
	global_store_b128 v22, v[12:15], s[6:7] offset:48
	s_wait_xcnt 0x0
	s_and_saveexec_b32 s1, s0
	s_cbranch_execz .LBB3_474
; %bb.467:                              ;   in Loop: Header=BB3_3 Depth=1
	s_clause 0x1
	global_load_b64 v[14:15], v53, s[2:3] offset:32 scope:SCOPE_SYS
	global_load_b64 v[0:1], v53, s[2:3] offset:40
	s_mov_b32 s6, exec_lo
	v_dual_mov_b32 v12, s4 :: v_dual_mov_b32 v13, s5
	s_wait_loadcnt 0x0
	v_and_b32_e32 v1, s5, v1
	v_and_b32_e32 v0, s4, v0
	s_delay_alu instid0(VALU_DEP_1) | instskip(NEXT) | instid1(VALU_DEP_1)
	v_mul_u64_e32 v[0:1], 24, v[0:1]
	v_add_nc_u64_e32 v[0:1], v[4:5], v[0:1]
	global_store_b64 v[0:1], v[14:15], off
	global_wb scope:SCOPE_SYS
	s_wait_storecnt 0x0
	s_wait_xcnt 0x0
	global_atomic_cmpswap_b64 v[6:7], v53, v[12:15], s[2:3] offset:32 th:TH_ATOMIC_RETURN scope:SCOPE_SYS
	s_wait_loadcnt 0x0
	v_cmpx_ne_u64_e64 v[6:7], v[14:15]
	s_cbranch_execz .LBB3_470
; %bb.468:                              ;   in Loop: Header=BB3_3 Depth=1
	s_mov_b32 s7, 0
.LBB3_469:                              ;   Parent Loop BB3_3 Depth=1
                                        ; =>  This Inner Loop Header: Depth=2
	v_dual_mov_b32 v4, s4 :: v_dual_mov_b32 v5, s5
	s_sleep 1
	global_store_b64 v[0:1], v[6:7], off
	global_wb scope:SCOPE_SYS
	s_wait_storecnt 0x0
	s_wait_xcnt 0x0
	global_atomic_cmpswap_b64 v[4:5], v53, v[4:7], s[2:3] offset:32 th:TH_ATOMIC_RETURN scope:SCOPE_SYS
	s_wait_loadcnt 0x0
	v_cmp_eq_u64_e32 vcc_lo, v[4:5], v[6:7]
	v_mov_b64_e32 v[6:7], v[4:5]
	s_or_b32 s7, vcc_lo, s7
	s_delay_alu instid0(SALU_CYCLE_1)
	s_and_not1_b32 exec_lo, exec_lo, s7
	s_cbranch_execnz .LBB3_469
.LBB3_470:                              ;   in Loop: Header=BB3_3 Depth=1
	s_or_b32 exec_lo, exec_lo, s6
	global_load_b64 v[0:1], v53, s[2:3] offset:16
	s_mov_b32 s7, exec_lo
	s_mov_b32 s6, exec_lo
	v_mbcnt_lo_u32_b32 v4, s7, 0
	s_wait_xcnt 0x0
	s_delay_alu instid0(VALU_DEP_1)
	v_cmpx_eq_u32_e32 0, v4
	s_cbranch_execz .LBB3_472
; %bb.471:                              ;   in Loop: Header=BB3_3 Depth=1
	s_bcnt1_i32_b32 s7, s7
	s_delay_alu instid0(SALU_CYCLE_1)
	v_mov_b32_e32 v52, s7
	global_wb scope:SCOPE_SYS
	s_wait_loadcnt 0x0
	s_wait_storecnt 0x0
	global_atomic_add_u64 v[0:1], v[52:53], off offset:8 scope:SCOPE_SYS
.LBB3_472:                              ;   in Loop: Header=BB3_3 Depth=1
	s_wait_xcnt 0x0
	s_or_b32 exec_lo, exec_lo, s6
	s_wait_loadcnt 0x0
	global_load_b64 v[4:5], v[0:1], off offset:16
	s_wait_loadcnt 0x0
	v_cmp_eq_u64_e32 vcc_lo, 0, v[4:5]
	s_cbranch_vccnz .LBB3_474
; %bb.473:                              ;   in Loop: Header=BB3_3 Depth=1
	global_load_b32 v52, v[0:1], off offset:24
	s_wait_loadcnt 0x0
	v_readfirstlane_b32 s6, v52
	global_wb scope:SCOPE_SYS
	s_wait_storecnt 0x0
	s_wait_xcnt 0x0
	global_store_b64 v[4:5], v[52:53], off scope:SCOPE_SYS
	s_and_b32 m0, s6, 0xffffff
	s_sendmsg sendmsg(MSG_INTERRUPT)
.LBB3_474:                              ;   in Loop: Header=BB3_3 Depth=1
	s_wait_xcnt 0x0
	s_or_b32 exec_lo, exec_lo, s1
	v_mov_b32_e32 v23, v53
	s_delay_alu instid0(VALU_DEP_1)
	v_add_nc_u64_e32 v[0:1], v[10:11], v[22:23]
	s_branch .LBB3_478
.LBB3_475:                              ;   in Loop: Header=BB3_478 Depth=2
	s_wait_xcnt 0x0
	s_or_b32 exec_lo, exec_lo, s1
	s_delay_alu instid0(VALU_DEP_1)
	v_readfirstlane_b32 s1, v4
	s_cmp_eq_u32 s1, 0
	s_cbranch_scc1 .LBB3_477
; %bb.476:                              ;   in Loop: Header=BB3_478 Depth=2
	s_sleep 1
	s_cbranch_execnz .LBB3_478
	s_branch .LBB3_480
.LBB3_477:                              ;   in Loop: Header=BB3_3 Depth=1
	s_branch .LBB3_480
.LBB3_478:                              ;   Parent Loop BB3_3 Depth=1
                                        ; =>  This Inner Loop Header: Depth=2
	v_mov_b32_e32 v4, 1
	s_and_saveexec_b32 s1, s0
	s_cbranch_execz .LBB3_475
; %bb.479:                              ;   in Loop: Header=BB3_478 Depth=2
	global_load_b32 v4, v[8:9], off offset:20 scope:SCOPE_SYS
	s_wait_loadcnt 0x0
	global_inv scope:SCOPE_SYS
	v_and_b32_e32 v4, 1, v4
	s_branch .LBB3_475
.LBB3_480:                              ;   in Loop: Header=BB3_3 Depth=1
	global_load_b64 v[0:1], v[0:1], off
	s_wait_xcnt 0x0
	s_and_saveexec_b32 s6, s0
	s_cbranch_execz .LBB3_484
; %bb.481:                              ;   in Loop: Header=BB3_3 Depth=1
	s_clause 0x2
	global_load_b64 v[4:5], v53, s[2:3] offset:40
	global_load_b64 v[12:13], v53, s[2:3] offset:24 scope:SCOPE_SYS
	global_load_b64 v[6:7], v53, s[2:3]
	s_wait_loadcnt 0x2
	v_readfirstlane_b32 s8, v4
	v_readfirstlane_b32 s9, v5
	s_add_nc_u64 s[0:1], s[8:9], 1
	s_delay_alu instid0(SALU_CYCLE_1) | instskip(NEXT) | instid1(SALU_CYCLE_1)
	s_add_nc_u64 s[4:5], s[0:1], s[4:5]
	s_cmp_eq_u64 s[4:5], 0
	s_cselect_b32 s1, s1, s5
	s_cselect_b32 s0, s0, s4
	s_delay_alu instid0(SALU_CYCLE_1) | instskip(SKIP_1) | instid1(SALU_CYCLE_1)
	v_dual_mov_b32 v11, s1 :: v_dual_mov_b32 v10, s0
	s_and_b64 s[4:5], s[0:1], s[8:9]
	s_mul_u64 s[4:5], s[4:5], 24
	s_wait_loadcnt 0x0
	v_add_nc_u64_e32 v[8:9], s[4:5], v[6:7]
	global_store_b64 v[8:9], v[12:13], off
	global_wb scope:SCOPE_SYS
	s_wait_storecnt 0x0
	s_wait_xcnt 0x0
	global_atomic_cmpswap_b64 v[6:7], v53, v[10:13], s[2:3] offset:24 th:TH_ATOMIC_RETURN scope:SCOPE_SYS
	s_wait_loadcnt 0x0
	v_cmp_ne_u64_e32 vcc_lo, v[6:7], v[12:13]
	s_and_b32 exec_lo, exec_lo, vcc_lo
	s_cbranch_execz .LBB3_484
; %bb.482:                              ;   in Loop: Header=BB3_3 Depth=1
	s_mov_b32 s4, 0
.LBB3_483:                              ;   Parent Loop BB3_3 Depth=1
                                        ; =>  This Inner Loop Header: Depth=2
	v_dual_mov_b32 v4, s0 :: v_dual_mov_b32 v5, s1
	s_sleep 1
	global_store_b64 v[8:9], v[6:7], off
	global_wb scope:SCOPE_SYS
	s_wait_storecnt 0x0
	s_wait_xcnt 0x0
	global_atomic_cmpswap_b64 v[4:5], v53, v[4:7], s[2:3] offset:24 th:TH_ATOMIC_RETURN scope:SCOPE_SYS
	s_wait_loadcnt 0x0
	v_cmp_eq_u64_e32 vcc_lo, v[4:5], v[6:7]
	v_mov_b64_e32 v[6:7], v[4:5]
	s_or_b32 s4, vcc_lo, s4
	s_delay_alu instid0(SALU_CYCLE_1)
	s_and_not1_b32 exec_lo, exec_lo, s4
	s_cbranch_execnz .LBB3_483
.LBB3_484:                              ;   in Loop: Header=BB3_3 Depth=1
	s_or_b32 exec_lo, exec_lo, s6
	v_readfirstlane_b32 s0, v80
	v_mov_b64_e32 v[8:9], 0
	s_delay_alu instid0(VALU_DEP_2)
	v_cmp_eq_u32_e64 s0, s0, v80
	s_and_saveexec_b32 s1, s0
	s_cbranch_execz .LBB3_490
; %bb.485:                              ;   in Loop: Header=BB3_3 Depth=1
	global_load_b64 v[6:7], v53, s[2:3] offset:24 scope:SCOPE_SYS
	s_wait_loadcnt 0x0
	global_inv scope:SCOPE_SYS
	s_clause 0x1
	global_load_b64 v[4:5], v53, s[2:3] offset:40
	global_load_b64 v[8:9], v53, s[2:3]
	s_mov_b32 s4, exec_lo
	s_wait_loadcnt 0x1
	v_and_b32_e32 v4, v4, v6
	v_and_b32_e32 v5, v5, v7
	s_delay_alu instid0(VALU_DEP_1) | instskip(SKIP_1) | instid1(VALU_DEP_1)
	v_mul_u64_e32 v[4:5], 24, v[4:5]
	s_wait_loadcnt 0x0
	v_add_nc_u64_e32 v[4:5], v[8:9], v[4:5]
	global_load_b64 v[4:5], v[4:5], off scope:SCOPE_SYS
	s_wait_xcnt 0x0
	s_wait_loadcnt 0x0
	global_atomic_cmpswap_b64 v[8:9], v53, v[4:7], s[2:3] offset:24 th:TH_ATOMIC_RETURN scope:SCOPE_SYS
	s_wait_loadcnt 0x0
	global_inv scope:SCOPE_SYS
	s_wait_xcnt 0x0
	v_cmpx_ne_u64_e64 v[8:9], v[6:7]
	s_cbranch_execz .LBB3_489
; %bb.486:                              ;   in Loop: Header=BB3_3 Depth=1
	s_mov_b32 s5, 0
.LBB3_487:                              ;   Parent Loop BB3_3 Depth=1
                                        ; =>  This Inner Loop Header: Depth=2
	s_sleep 1
	s_clause 0x1
	global_load_b64 v[4:5], v53, s[2:3] offset:40
	global_load_b64 v[10:11], v53, s[2:3]
	v_mov_b64_e32 v[6:7], v[8:9]
	s_wait_loadcnt 0x1
	s_delay_alu instid0(VALU_DEP_1) | instskip(SKIP_1) | instid1(VALU_DEP_1)
	v_and_b32_e32 v4, v4, v6
	s_wait_loadcnt 0x0
	v_mad_nc_u64_u32 v[8:9], v4, 24, v[10:11]
	s_delay_alu instid0(VALU_DEP_3) | instskip(NEXT) | instid1(VALU_DEP_1)
	v_and_b32_e32 v4, v5, v7
	v_mad_u32 v9, v4, 24, v9
	global_load_b64 v[4:5], v[8:9], off scope:SCOPE_SYS
	s_wait_xcnt 0x0
	s_wait_loadcnt 0x0
	global_atomic_cmpswap_b64 v[8:9], v53, v[4:7], s[2:3] offset:24 th:TH_ATOMIC_RETURN scope:SCOPE_SYS
	s_wait_loadcnt 0x0
	global_inv scope:SCOPE_SYS
	v_cmp_eq_u64_e32 vcc_lo, v[8:9], v[6:7]
	s_or_b32 s5, vcc_lo, s5
	s_wait_xcnt 0x0
	s_and_not1_b32 exec_lo, exec_lo, s5
	s_cbranch_execnz .LBB3_487
; %bb.488:                              ;   in Loop: Header=BB3_3 Depth=1
	s_or_b32 exec_lo, exec_lo, s5
.LBB3_489:                              ;   in Loop: Header=BB3_3 Depth=1
	s_delay_alu instid0(SALU_CYCLE_1)
	s_or_b32 exec_lo, exec_lo, s4
.LBB3_490:                              ;   in Loop: Header=BB3_3 Depth=1
	s_delay_alu instid0(SALU_CYCLE_1)
	s_or_b32 exec_lo, exec_lo, s1
	s_clause 0x1
	global_load_b64 v[10:11], v53, s[2:3] offset:40
	global_load_b128 v[4:7], v53, s[2:3]
	v_readfirstlane_b32 s4, v8
	v_readfirstlane_b32 s5, v9
	s_mov_b32 s1, exec_lo
	s_wait_loadcnt 0x1
	v_and_b32_e32 v10, s4, v10
	v_and_b32_e32 v11, s5, v11
	s_delay_alu instid0(VALU_DEP_1) | instskip(SKIP_1) | instid1(VALU_DEP_1)
	v_mul_u64_e32 v[8:9], 24, v[10:11]
	s_wait_loadcnt 0x0
	v_add_nc_u64_e32 v[8:9], v[4:5], v[8:9]
	s_wait_xcnt 0x0
	s_and_saveexec_b32 s6, s0
	s_cbranch_execz .LBB3_492
; %bb.491:                              ;   in Loop: Header=BB3_3 Depth=1
	v_mov_b32_e32 v52, s1
	global_store_b128 v[8:9], v[52:55], off offset:8
.LBB3_492:                              ;   in Loop: Header=BB3_3 Depth=1
	s_wait_xcnt 0x0
	s_or_b32 exec_lo, exec_lo, s6
	v_lshlrev_b64_e32 v[10:11], 12, v[10:11]
	s_mov_b32 s17, s16
	s_mov_b32 s18, s16
	;; [unrolled: 1-line block ×3, first 2 shown]
	v_and_or_b32 v0, 0xffffff1d, v0, 34
	s_delay_alu instid0(VALU_DEP_2) | instskip(SKIP_2) | instid1(VALU_DEP_3)
	v_add_nc_u64_e32 v[6:7], v[6:7], v[10:11]
	v_mov_b64_e32 v[10:11], s[16:17]
	v_mov_b64_e32 v[12:13], s[18:19]
	v_readfirstlane_b32 s6, v6
	s_delay_alu instid0(VALU_DEP_4)
	v_readfirstlane_b32 s7, v7
	s_clause 0x3
	global_store_b128 v22, v[0:3], s[6:7]
	global_store_b128 v22, v[10:13], s[6:7] offset:16
	global_store_b128 v22, v[10:13], s[6:7] offset:32
	;; [unrolled: 1-line block ×3, first 2 shown]
	s_wait_xcnt 0x0
	s_and_saveexec_b32 s1, s0
	s_cbranch_execz .LBB3_500
; %bb.493:                              ;   in Loop: Header=BB3_3 Depth=1
	s_clause 0x1
	global_load_b64 v[12:13], v53, s[2:3] offset:32 scope:SCOPE_SYS
	global_load_b64 v[0:1], v53, s[2:3] offset:40
	s_mov_b32 s6, exec_lo
	v_dual_mov_b32 v10, s4 :: v_dual_mov_b32 v11, s5
	s_wait_loadcnt 0x0
	v_and_b32_e32 v1, s5, v1
	v_and_b32_e32 v0, s4, v0
	s_delay_alu instid0(VALU_DEP_1) | instskip(NEXT) | instid1(VALU_DEP_1)
	v_mul_u64_e32 v[0:1], 24, v[0:1]
	v_add_nc_u64_e32 v[4:5], v[4:5], v[0:1]
	global_store_b64 v[4:5], v[12:13], off
	global_wb scope:SCOPE_SYS
	s_wait_storecnt 0x0
	s_wait_xcnt 0x0
	global_atomic_cmpswap_b64 v[2:3], v53, v[10:13], s[2:3] offset:32 th:TH_ATOMIC_RETURN scope:SCOPE_SYS
	s_wait_loadcnt 0x0
	v_cmpx_ne_u64_e64 v[2:3], v[12:13]
	s_cbranch_execz .LBB3_496
; %bb.494:                              ;   in Loop: Header=BB3_3 Depth=1
	s_mov_b32 s7, 0
.LBB3_495:                              ;   Parent Loop BB3_3 Depth=1
                                        ; =>  This Inner Loop Header: Depth=2
	v_dual_mov_b32 v0, s4 :: v_dual_mov_b32 v1, s5
	s_sleep 1
	global_store_b64 v[4:5], v[2:3], off
	global_wb scope:SCOPE_SYS
	s_wait_storecnt 0x0
	s_wait_xcnt 0x0
	global_atomic_cmpswap_b64 v[0:1], v53, v[0:3], s[2:3] offset:32 th:TH_ATOMIC_RETURN scope:SCOPE_SYS
	s_wait_loadcnt 0x0
	v_cmp_eq_u64_e32 vcc_lo, v[0:1], v[2:3]
	v_mov_b64_e32 v[2:3], v[0:1]
	s_or_b32 s7, vcc_lo, s7
	s_delay_alu instid0(SALU_CYCLE_1)
	s_and_not1_b32 exec_lo, exec_lo, s7
	s_cbranch_execnz .LBB3_495
.LBB3_496:                              ;   in Loop: Header=BB3_3 Depth=1
	s_or_b32 exec_lo, exec_lo, s6
	global_load_b64 v[0:1], v53, s[2:3] offset:16
	s_mov_b32 s7, exec_lo
	s_mov_b32 s6, exec_lo
	v_mbcnt_lo_u32_b32 v2, s7, 0
	s_wait_xcnt 0x0
	s_delay_alu instid0(VALU_DEP_1)
	v_cmpx_eq_u32_e32 0, v2
	s_cbranch_execz .LBB3_498
; %bb.497:                              ;   in Loop: Header=BB3_3 Depth=1
	s_bcnt1_i32_b32 s7, s7
	s_delay_alu instid0(SALU_CYCLE_1)
	v_mov_b32_e32 v52, s7
	global_wb scope:SCOPE_SYS
	s_wait_loadcnt 0x0
	s_wait_storecnt 0x0
	global_atomic_add_u64 v[0:1], v[52:53], off offset:8 scope:SCOPE_SYS
.LBB3_498:                              ;   in Loop: Header=BB3_3 Depth=1
	s_wait_xcnt 0x0
	s_or_b32 exec_lo, exec_lo, s6
	s_wait_loadcnt 0x0
	global_load_b64 v[2:3], v[0:1], off offset:16
	s_wait_loadcnt 0x0
	v_cmp_eq_u64_e32 vcc_lo, 0, v[2:3]
	s_cbranch_vccnz .LBB3_500
; %bb.499:                              ;   in Loop: Header=BB3_3 Depth=1
	global_load_b32 v52, v[0:1], off offset:24
	s_wait_loadcnt 0x0
	v_readfirstlane_b32 s6, v52
	global_wb scope:SCOPE_SYS
	s_wait_storecnt 0x0
	s_wait_xcnt 0x0
	global_store_b64 v[2:3], v[52:53], off scope:SCOPE_SYS
	s_and_b32 m0, s6, 0xffffff
	s_sendmsg sendmsg(MSG_INTERRUPT)
.LBB3_500:                              ;   in Loop: Header=BB3_3 Depth=1
	s_wait_xcnt 0x0
	s_or_b32 exec_lo, exec_lo, s1
	v_mov_b32_e32 v23, v53
	s_delay_alu instid0(VALU_DEP_1)
	v_add_nc_u64_e32 v[0:1], v[6:7], v[22:23]
	s_branch .LBB3_504
.LBB3_501:                              ;   in Loop: Header=BB3_504 Depth=2
	s_wait_xcnt 0x0
	s_or_b32 exec_lo, exec_lo, s1
	s_delay_alu instid0(VALU_DEP_1)
	v_readfirstlane_b32 s1, v2
	s_cmp_eq_u32 s1, 0
	s_cbranch_scc1 .LBB3_503
; %bb.502:                              ;   in Loop: Header=BB3_504 Depth=2
	s_sleep 1
	s_cbranch_execnz .LBB3_504
	s_branch .LBB3_506
.LBB3_503:                              ;   in Loop: Header=BB3_3 Depth=1
	s_branch .LBB3_506
.LBB3_504:                              ;   Parent Loop BB3_3 Depth=1
                                        ; =>  This Inner Loop Header: Depth=2
	v_mov_b32_e32 v2, 1
	s_and_saveexec_b32 s1, s0
	s_cbranch_execz .LBB3_501
; %bb.505:                              ;   in Loop: Header=BB3_504 Depth=2
	global_load_b32 v2, v[8:9], off offset:20 scope:SCOPE_SYS
	s_wait_loadcnt 0x0
	global_inv scope:SCOPE_SYS
	v_and_b32_e32 v2, 1, v2
	s_branch .LBB3_501
.LBB3_506:                              ;   in Loop: Header=BB3_3 Depth=1
	global_load_b64 v[0:1], v[0:1], off
	s_wait_xcnt 0x0
	s_and_saveexec_b32 s6, s0
	s_cbranch_execz .LBB3_510
; %bb.507:                              ;   in Loop: Header=BB3_3 Depth=1
	s_clause 0x2
	global_load_b64 v[2:3], v53, s[2:3] offset:40
	global_load_b64 v[10:11], v53, s[2:3] offset:24 scope:SCOPE_SYS
	global_load_b64 v[4:5], v53, s[2:3]
	s_wait_loadcnt 0x2
	v_readfirstlane_b32 s8, v2
	v_readfirstlane_b32 s9, v3
	s_add_nc_u64 s[0:1], s[8:9], 1
	s_delay_alu instid0(SALU_CYCLE_1) | instskip(NEXT) | instid1(SALU_CYCLE_1)
	s_add_nc_u64 s[4:5], s[0:1], s[4:5]
	s_cmp_eq_u64 s[4:5], 0
	s_cselect_b32 s1, s1, s5
	s_cselect_b32 s0, s0, s4
	s_delay_alu instid0(SALU_CYCLE_1) | instskip(SKIP_1) | instid1(SALU_CYCLE_1)
	v_dual_mov_b32 v9, s1 :: v_dual_mov_b32 v8, s0
	s_and_b64 s[4:5], s[0:1], s[8:9]
	s_mul_u64 s[4:5], s[4:5], 24
	s_wait_loadcnt 0x0
	v_add_nc_u64_e32 v[6:7], s[4:5], v[4:5]
	global_store_b64 v[6:7], v[10:11], off
	global_wb scope:SCOPE_SYS
	s_wait_storecnt 0x0
	s_wait_xcnt 0x0
	global_atomic_cmpswap_b64 v[4:5], v53, v[8:11], s[2:3] offset:24 th:TH_ATOMIC_RETURN scope:SCOPE_SYS
	s_wait_loadcnt 0x0
	v_cmp_ne_u64_e32 vcc_lo, v[4:5], v[10:11]
	s_and_b32 exec_lo, exec_lo, vcc_lo
	s_cbranch_execz .LBB3_510
; %bb.508:                              ;   in Loop: Header=BB3_3 Depth=1
	s_mov_b32 s4, 0
.LBB3_509:                              ;   Parent Loop BB3_3 Depth=1
                                        ; =>  This Inner Loop Header: Depth=2
	v_dual_mov_b32 v2, s0 :: v_dual_mov_b32 v3, s1
	s_sleep 1
	global_store_b64 v[6:7], v[4:5], off
	global_wb scope:SCOPE_SYS
	s_wait_storecnt 0x0
	s_wait_xcnt 0x0
	global_atomic_cmpswap_b64 v[2:3], v53, v[2:5], s[2:3] offset:24 th:TH_ATOMIC_RETURN scope:SCOPE_SYS
	s_wait_loadcnt 0x0
	v_cmp_eq_u64_e32 vcc_lo, v[2:3], v[4:5]
	v_mov_b64_e32 v[4:5], v[2:3]
	s_or_b32 s4, vcc_lo, s4
	s_delay_alu instid0(SALU_CYCLE_1)
	s_and_not1_b32 exec_lo, exec_lo, s4
	s_cbranch_execnz .LBB3_509
.LBB3_510:                              ;   in Loop: Header=BB3_3 Depth=1
	s_or_b32 exec_lo, exec_lo, s6
.LBB3_511:                              ;   in Loop: Header=BB3_3 Depth=1
	s_delay_alu instid0(SALU_CYCLE_1)
	s_or_b32 exec_lo, exec_lo, s47
                                        ; implicit-def: $vgpr30
.LBB3_512:                              ;   in Loop: Header=BB3_3 Depth=1
	s_and_not1_saveexec_b32 s46, s46
	s_cbranch_execz .LBB3_1504
; %bb.513:                              ;   in Loop: Header=BB3_3 Depth=1
                                        ; implicit-def: $vgpr0_vgpr1
	s_mov_b32 s0, exec_lo
	v_cmpx_lt_i32_e32 1, v39
	s_xor_b32 s47, exec_lo, s0
	s_cbranch_execz .LBB3_885
; %bb.514:                              ;   in Loop: Header=BB3_3 Depth=1
                                        ; implicit-def: $vgpr0_vgpr1
	s_mov_b32 s0, exec_lo
	v_cmpx_lt_i32_e32 2, v39
	s_xor_b32 s56, exec_lo, s0
	s_cbranch_execz .LBB3_861
; %bb.515:                              ;   in Loop: Header=BB3_3 Depth=1
	flat_load_b32 v32, v[70:71]
	s_load_b64 s[2:3], s[14:15], 0x50
	v_readfirstlane_b32 s0, v80
	v_mov_b64_e32 v[4:5], 0
	s_delay_alu instid0(VALU_DEP_2)
	v_cmp_eq_u32_e64 s0, s0, v80
	s_and_saveexec_b32 s1, s0
	s_cbranch_execz .LBB3_521
; %bb.516:                              ;   in Loop: Header=BB3_3 Depth=1
	s_wait_kmcnt 0x0
	global_load_b64 v[2:3], v53, s[2:3] offset:24 scope:SCOPE_SYS
	s_wait_loadcnt 0x0
	global_inv scope:SCOPE_SYS
	s_clause 0x1
	global_load_b64 v[0:1], v53, s[2:3] offset:40
	global_load_b64 v[4:5], v53, s[2:3]
	s_mov_b32 s4, exec_lo
	s_wait_loadcnt 0x1
	v_and_b32_e32 v0, v0, v2
	v_and_b32_e32 v1, v1, v3
	s_delay_alu instid0(VALU_DEP_1) | instskip(SKIP_1) | instid1(VALU_DEP_1)
	v_mul_u64_e32 v[0:1], 24, v[0:1]
	s_wait_loadcnt 0x0
	v_add_nc_u64_e32 v[0:1], v[4:5], v[0:1]
	global_load_b64 v[0:1], v[0:1], off scope:SCOPE_SYS
	s_wait_xcnt 0x0
	s_wait_loadcnt 0x0
	global_atomic_cmpswap_b64 v[4:5], v53, v[0:3], s[2:3] offset:24 th:TH_ATOMIC_RETURN scope:SCOPE_SYS
	s_wait_loadcnt 0x0
	global_inv scope:SCOPE_SYS
	s_wait_xcnt 0x0
	v_cmpx_ne_u64_e64 v[4:5], v[2:3]
	s_cbranch_execz .LBB3_520
; %bb.517:                              ;   in Loop: Header=BB3_3 Depth=1
	s_mov_b32 s5, 0
.LBB3_518:                              ;   Parent Loop BB3_3 Depth=1
                                        ; =>  This Inner Loop Header: Depth=2
	s_sleep 1
	s_clause 0x1
	global_load_b64 v[0:1], v53, s[2:3] offset:40
	global_load_b64 v[6:7], v53, s[2:3]
	v_mov_b64_e32 v[2:3], v[4:5]
	s_wait_loadcnt 0x1
	s_delay_alu instid0(VALU_DEP_1) | instskip(SKIP_1) | instid1(VALU_DEP_1)
	v_and_b32_e32 v0, v0, v2
	s_wait_loadcnt 0x0
	v_mad_nc_u64_u32 v[4:5], v0, 24, v[6:7]
	s_delay_alu instid0(VALU_DEP_3) | instskip(NEXT) | instid1(VALU_DEP_1)
	v_and_b32_e32 v0, v1, v3
	v_mad_u32 v5, v0, 24, v5
	global_load_b64 v[0:1], v[4:5], off scope:SCOPE_SYS
	s_wait_xcnt 0x0
	s_wait_loadcnt 0x0
	global_atomic_cmpswap_b64 v[4:5], v53, v[0:3], s[2:3] offset:24 th:TH_ATOMIC_RETURN scope:SCOPE_SYS
	s_wait_loadcnt 0x0
	global_inv scope:SCOPE_SYS
	v_cmp_eq_u64_e32 vcc_lo, v[4:5], v[2:3]
	s_or_b32 s5, vcc_lo, s5
	s_wait_xcnt 0x0
	s_and_not1_b32 exec_lo, exec_lo, s5
	s_cbranch_execnz .LBB3_518
; %bb.519:                              ;   in Loop: Header=BB3_3 Depth=1
	s_or_b32 exec_lo, exec_lo, s5
.LBB3_520:                              ;   in Loop: Header=BB3_3 Depth=1
	s_delay_alu instid0(SALU_CYCLE_1)
	s_or_b32 exec_lo, exec_lo, s4
.LBB3_521:                              ;   in Loop: Header=BB3_3 Depth=1
	s_delay_alu instid0(SALU_CYCLE_1)
	s_or_b32 exec_lo, exec_lo, s1
	s_wait_kmcnt 0x0
	global_load_b64 v[6:7], v53, s[2:3] offset:40
	s_wait_loadcnt 0x2
	global_load_b128 v[0:3], v53, s[2:3]
	v_readfirstlane_b32 s4, v4
	v_readfirstlane_b32 s5, v5
	s_mov_b32 s1, exec_lo
	s_wait_loadcnt 0x1
	v_and_b32_e32 v6, s4, v6
	v_and_b32_e32 v7, s5, v7
	s_delay_alu instid0(VALU_DEP_1) | instskip(SKIP_1) | instid1(VALU_DEP_1)
	v_mul_u64_e32 v[4:5], 24, v[6:7]
	s_wait_loadcnt 0x0
	v_add_nc_u64_e32 v[4:5], v[0:1], v[4:5]
	s_wait_xcnt 0x0
	s_and_saveexec_b32 s6, s0
	s_cbranch_execz .LBB3_523
; %bb.522:                              ;   in Loop: Header=BB3_3 Depth=1
	v_mov_b32_e32 v52, s1
	global_store_b128 v[4:5], v[52:55], off offset:8
.LBB3_523:                              ;   in Loop: Header=BB3_3 Depth=1
	s_wait_xcnt 0x0
	s_or_b32 exec_lo, exec_lo, s6
	v_lshlrev_b64_e32 v[6:7], 12, v[6:7]
	s_mov_b32 s17, s16
	s_mov_b32 s18, s16
	;; [unrolled: 1-line block ×3, first 2 shown]
	v_mov_b64_e32 v[8:9], s[16:17]
	v_mov_b64_e32 v[10:11], s[18:19]
	v_dual_mov_b32 v65, v53 :: v_dual_lshlrev_b32 v22, 6, v80
	v_add_nc_u64_e32 v[6:7], v[2:3], v[6:7]
	v_dual_mov_b32 v66, v53 :: v_dual_mov_b32 v67, v53
	s_delay_alu instid0(VALU_DEP_2) | instskip(NEXT) | instid1(VALU_DEP_3)
	v_readfirstlane_b32 s6, v6
	v_readfirstlane_b32 s7, v7
	s_clause 0x3
	global_store_b128 v22, v[64:67], s[6:7]
	global_store_b128 v22, v[8:11], s[6:7] offset:16
	global_store_b128 v22, v[8:11], s[6:7] offset:32
	;; [unrolled: 1-line block ×3, first 2 shown]
	s_wait_xcnt 0x0
	s_and_saveexec_b32 s1, s0
	s_cbranch_execz .LBB3_531
; %bb.524:                              ;   in Loop: Header=BB3_3 Depth=1
	s_clause 0x1
	global_load_b64 v[12:13], v53, s[2:3] offset:32 scope:SCOPE_SYS
	global_load_b64 v[2:3], v53, s[2:3] offset:40
	s_mov_b32 s6, exec_lo
	v_dual_mov_b32 v10, s4 :: v_dual_mov_b32 v11, s5
	s_wait_loadcnt 0x0
	v_and_b32_e32 v3, s5, v3
	v_and_b32_e32 v2, s4, v2
	s_delay_alu instid0(VALU_DEP_1) | instskip(NEXT) | instid1(VALU_DEP_1)
	v_mul_u64_e32 v[2:3], 24, v[2:3]
	v_add_nc_u64_e32 v[8:9], v[0:1], v[2:3]
	global_store_b64 v[8:9], v[12:13], off
	global_wb scope:SCOPE_SYS
	s_wait_storecnt 0x0
	s_wait_xcnt 0x0
	global_atomic_cmpswap_b64 v[2:3], v53, v[10:13], s[2:3] offset:32 th:TH_ATOMIC_RETURN scope:SCOPE_SYS
	s_wait_loadcnt 0x0
	v_cmpx_ne_u64_e64 v[2:3], v[12:13]
	s_cbranch_execz .LBB3_527
; %bb.525:                              ;   in Loop: Header=BB3_3 Depth=1
	s_mov_b32 s7, 0
.LBB3_526:                              ;   Parent Loop BB3_3 Depth=1
                                        ; =>  This Inner Loop Header: Depth=2
	v_dual_mov_b32 v0, s4 :: v_dual_mov_b32 v1, s5
	s_sleep 1
	global_store_b64 v[8:9], v[2:3], off
	global_wb scope:SCOPE_SYS
	s_wait_storecnt 0x0
	s_wait_xcnt 0x0
	global_atomic_cmpswap_b64 v[0:1], v53, v[0:3], s[2:3] offset:32 th:TH_ATOMIC_RETURN scope:SCOPE_SYS
	s_wait_loadcnt 0x0
	v_cmp_eq_u64_e32 vcc_lo, v[0:1], v[2:3]
	v_mov_b64_e32 v[2:3], v[0:1]
	s_or_b32 s7, vcc_lo, s7
	s_delay_alu instid0(SALU_CYCLE_1)
	s_and_not1_b32 exec_lo, exec_lo, s7
	s_cbranch_execnz .LBB3_526
.LBB3_527:                              ;   in Loop: Header=BB3_3 Depth=1
	s_or_b32 exec_lo, exec_lo, s6
	global_load_b64 v[0:1], v53, s[2:3] offset:16
	s_mov_b32 s7, exec_lo
	s_mov_b32 s6, exec_lo
	v_mbcnt_lo_u32_b32 v2, s7, 0
	s_wait_xcnt 0x0
	s_delay_alu instid0(VALU_DEP_1)
	v_cmpx_eq_u32_e32 0, v2
	s_cbranch_execz .LBB3_529
; %bb.528:                              ;   in Loop: Header=BB3_3 Depth=1
	s_bcnt1_i32_b32 s7, s7
	s_delay_alu instid0(SALU_CYCLE_1)
	v_mov_b32_e32 v52, s7
	global_wb scope:SCOPE_SYS
	s_wait_loadcnt 0x0
	s_wait_storecnt 0x0
	global_atomic_add_u64 v[0:1], v[52:53], off offset:8 scope:SCOPE_SYS
.LBB3_529:                              ;   in Loop: Header=BB3_3 Depth=1
	s_wait_xcnt 0x0
	s_or_b32 exec_lo, exec_lo, s6
	s_wait_loadcnt 0x0
	global_load_b64 v[2:3], v[0:1], off offset:16
	s_wait_loadcnt 0x0
	v_cmp_eq_u64_e32 vcc_lo, 0, v[2:3]
	s_cbranch_vccnz .LBB3_531
; %bb.530:                              ;   in Loop: Header=BB3_3 Depth=1
	global_load_b32 v52, v[0:1], off offset:24
	s_wait_loadcnt 0x0
	v_readfirstlane_b32 s6, v52
	global_wb scope:SCOPE_SYS
	s_wait_storecnt 0x0
	s_wait_xcnt 0x0
	global_store_b64 v[2:3], v[52:53], off scope:SCOPE_SYS
	s_and_b32 m0, s6, 0xffffff
	s_sendmsg sendmsg(MSG_INTERRUPT)
.LBB3_531:                              ;   in Loop: Header=BB3_3 Depth=1
	s_wait_xcnt 0x0
	s_or_b32 exec_lo, exec_lo, s1
	v_mov_b32_e32 v23, v53
	s_delay_alu instid0(VALU_DEP_1)
	v_add_nc_u64_e32 v[0:1], v[6:7], v[22:23]
	s_branch .LBB3_535
.LBB3_532:                              ;   in Loop: Header=BB3_535 Depth=2
	s_wait_xcnt 0x0
	s_or_b32 exec_lo, exec_lo, s1
	s_delay_alu instid0(VALU_DEP_1)
	v_readfirstlane_b32 s1, v2
	s_cmp_eq_u32 s1, 0
	s_cbranch_scc1 .LBB3_534
; %bb.533:                              ;   in Loop: Header=BB3_535 Depth=2
	s_sleep 1
	s_cbranch_execnz .LBB3_535
	s_branch .LBB3_537
.LBB3_534:                              ;   in Loop: Header=BB3_3 Depth=1
	s_branch .LBB3_537
.LBB3_535:                              ;   Parent Loop BB3_3 Depth=1
                                        ; =>  This Inner Loop Header: Depth=2
	v_mov_b32_e32 v2, 1
	s_and_saveexec_b32 s1, s0
	s_cbranch_execz .LBB3_532
; %bb.536:                              ;   in Loop: Header=BB3_535 Depth=2
	global_load_b32 v2, v[4:5], off offset:20 scope:SCOPE_SYS
	s_wait_loadcnt 0x0
	global_inv scope:SCOPE_SYS
	v_and_b32_e32 v2, 1, v2
	s_branch .LBB3_532
.LBB3_537:                              ;   in Loop: Header=BB3_3 Depth=1
	global_load_b64 v[0:1], v[0:1], off
	s_wait_xcnt 0x0
	s_and_saveexec_b32 s6, s0
	s_cbranch_execz .LBB3_541
; %bb.538:                              ;   in Loop: Header=BB3_3 Depth=1
	s_clause 0x2
	global_load_b64 v[2:3], v53, s[2:3] offset:40
	global_load_b64 v[10:11], v53, s[2:3] offset:24 scope:SCOPE_SYS
	global_load_b64 v[4:5], v53, s[2:3]
	s_wait_loadcnt 0x2
	v_readfirstlane_b32 s8, v2
	v_readfirstlane_b32 s9, v3
	s_add_nc_u64 s[0:1], s[8:9], 1
	s_delay_alu instid0(SALU_CYCLE_1) | instskip(NEXT) | instid1(SALU_CYCLE_1)
	s_add_nc_u64 s[4:5], s[0:1], s[4:5]
	s_cmp_eq_u64 s[4:5], 0
	s_cselect_b32 s1, s1, s5
	s_cselect_b32 s0, s0, s4
	s_delay_alu instid0(SALU_CYCLE_1) | instskip(SKIP_1) | instid1(SALU_CYCLE_1)
	v_dual_mov_b32 v9, s1 :: v_dual_mov_b32 v8, s0
	s_and_b64 s[4:5], s[0:1], s[8:9]
	s_mul_u64 s[4:5], s[4:5], 24
	s_wait_loadcnt 0x0
	v_add_nc_u64_e32 v[6:7], s[4:5], v[4:5]
	global_store_b64 v[6:7], v[10:11], off
	global_wb scope:SCOPE_SYS
	s_wait_storecnt 0x0
	s_wait_xcnt 0x0
	global_atomic_cmpswap_b64 v[4:5], v53, v[8:11], s[2:3] offset:24 th:TH_ATOMIC_RETURN scope:SCOPE_SYS
	s_wait_loadcnt 0x0
	v_cmp_ne_u64_e32 vcc_lo, v[4:5], v[10:11]
	s_and_b32 exec_lo, exec_lo, vcc_lo
	s_cbranch_execz .LBB3_541
; %bb.539:                              ;   in Loop: Header=BB3_3 Depth=1
	s_mov_b32 s4, 0
.LBB3_540:                              ;   Parent Loop BB3_3 Depth=1
                                        ; =>  This Inner Loop Header: Depth=2
	v_dual_mov_b32 v2, s0 :: v_dual_mov_b32 v3, s1
	s_sleep 1
	global_store_b64 v[6:7], v[4:5], off
	global_wb scope:SCOPE_SYS
	s_wait_storecnt 0x0
	s_wait_xcnt 0x0
	global_atomic_cmpswap_b64 v[2:3], v53, v[2:5], s[2:3] offset:24 th:TH_ATOMIC_RETURN scope:SCOPE_SYS
	s_wait_loadcnt 0x0
	v_cmp_eq_u64_e32 vcc_lo, v[2:3], v[4:5]
	v_mov_b64_e32 v[4:5], v[2:3]
	s_or_b32 s4, vcc_lo, s4
	s_delay_alu instid0(SALU_CYCLE_1)
	s_and_not1_b32 exec_lo, exec_lo, s4
	s_cbranch_execnz .LBB3_540
.LBB3_541:                              ;   in Loop: Header=BB3_3 Depth=1
	s_or_b32 exec_lo, exec_lo, s6
	s_delay_alu instid0(SALU_CYCLE_1)
	s_and_b32 vcc_lo, exec_lo, s62
	s_cbranch_vccz .LBB3_754
; %bb.542:                              ;   in Loop: Header=BB3_3 Depth=1
	s_wait_loadcnt 0x0
	v_dual_mov_b32 v3, v1 :: v_dual_bitop2_b32 v24, 2, v0 bitop3:0x40
	v_and_b32_e32 v2, -3, v0
	s_mov_b64 s[6:7], 34
	s_get_pc_i64 s[4:5]
	s_add_nc_u64 s[4:5], s[4:5], .str@rel64+4
	s_branch .LBB3_544
.LBB3_543:                              ;   in Loop: Header=BB3_544 Depth=2
	s_or_b32 exec_lo, exec_lo, s12
	s_sub_nc_u64 s[6:7], s[6:7], s[8:9]
	s_add_nc_u64 s[4:5], s[4:5], s[8:9]
	s_cmp_lg_u64 s[6:7], 0
	s_cbranch_scc0 .LBB3_620
.LBB3_544:                              ;   Parent Loop BB3_3 Depth=1
                                        ; =>  This Loop Header: Depth=2
                                        ;       Child Loop BB3_547 Depth 3
                                        ;       Child Loop BB3_554 Depth 3
	;; [unrolled: 1-line block ×11, first 2 shown]
	v_min_u64 v[4:5], s[6:7], 56
	v_cmp_gt_u64_e64 s0, s[6:7], 7
	s_and_b32 vcc_lo, exec_lo, s0
	v_readfirstlane_b32 s8, v4
	v_readfirstlane_b32 s9, v5
	s_cbranch_vccnz .LBB3_549
; %bb.545:                              ;   in Loop: Header=BB3_544 Depth=2
	v_mov_b64_e32 v[4:5], 0
	s_cmp_eq_u64 s[6:7], 0
	s_cbranch_scc1 .LBB3_548
; %bb.546:                              ;   in Loop: Header=BB3_544 Depth=2
	s_mov_b64 s[0:1], 0
	s_mov_b64 s[10:11], 0
.LBB3_547:                              ;   Parent Loop BB3_3 Depth=1
                                        ;     Parent Loop BB3_544 Depth=2
                                        ; =>    This Inner Loop Header: Depth=3
	s_wait_xcnt 0x0
	s_add_nc_u64 s[12:13], s[4:5], s[10:11]
	s_add_nc_u64 s[10:11], s[10:11], 1
	global_load_u8 v6, v53, s[12:13]
	s_cmp_lg_u32 s8, s10
	s_wait_loadcnt 0x0
	v_and_b32_e32 v52, 0xffff, v6
	s_delay_alu instid0(VALU_DEP_1) | instskip(SKIP_1) | instid1(VALU_DEP_1)
	v_lshlrev_b64_e32 v[6:7], s0, v[52:53]
	s_add_nc_u64 s[0:1], s[0:1], 8
	v_or_b32_e32 v4, v6, v4
	s_delay_alu instid0(VALU_DEP_2)
	v_or_b32_e32 v5, v7, v5
	s_cbranch_scc1 .LBB3_547
.LBB3_548:                              ;   in Loop: Header=BB3_544 Depth=2
	s_mov_b64 s[0:1], s[4:5]
	s_mov_b32 s17, 0
	s_cbranch_execz .LBB3_550
	s_branch .LBB3_551
.LBB3_549:                              ;   in Loop: Header=BB3_544 Depth=2
	s_add_nc_u64 s[0:1], s[4:5], 8
	s_mov_b32 s17, 0
.LBB3_550:                              ;   in Loop: Header=BB3_544 Depth=2
	global_load_b64 v[4:5], v53, s[4:5]
	s_add_co_i32 s17, s8, -8
.LBB3_551:                              ;   in Loop: Header=BB3_544 Depth=2
	s_delay_alu instid0(SALU_CYCLE_1)
	s_cmp_gt_u32 s17, 7
	s_cbranch_scc1 .LBB3_556
; %bb.552:                              ;   in Loop: Header=BB3_544 Depth=2
	v_mov_b64_e32 v[6:7], 0
	s_cmp_eq_u32 s17, 0
	s_cbranch_scc1 .LBB3_555
; %bb.553:                              ;   in Loop: Header=BB3_544 Depth=2
	s_mov_b64 s[10:11], 0
	s_wait_xcnt 0x0
	s_mov_b64 s[12:13], 0
.LBB3_554:                              ;   Parent Loop BB3_3 Depth=1
                                        ;     Parent Loop BB3_544 Depth=2
                                        ; =>    This Inner Loop Header: Depth=3
	s_wait_xcnt 0x0
	s_add_nc_u64 s[18:19], s[0:1], s[12:13]
	s_add_nc_u64 s[12:13], s[12:13], 1
	global_load_u8 v8, v53, s[18:19]
	s_cmp_lg_u32 s17, s12
	s_wait_loadcnt 0x0
	v_and_b32_e32 v52, 0xffff, v8
	s_delay_alu instid0(VALU_DEP_1) | instskip(SKIP_1) | instid1(VALU_DEP_1)
	v_lshlrev_b64_e32 v[8:9], s10, v[52:53]
	s_add_nc_u64 s[10:11], s[10:11], 8
	v_or_b32_e32 v6, v8, v6
	s_delay_alu instid0(VALU_DEP_2)
	v_or_b32_e32 v7, v9, v7
	s_cbranch_scc1 .LBB3_554
.LBB3_555:                              ;   in Loop: Header=BB3_544 Depth=2
	s_wait_xcnt 0x0
	s_mov_b64 s[10:11], s[0:1]
	s_mov_b32 s18, 0
	s_cbranch_execz .LBB3_557
	s_branch .LBB3_558
.LBB3_556:                              ;   in Loop: Header=BB3_544 Depth=2
	s_add_nc_u64 s[10:11], s[0:1], 8
	s_wait_xcnt 0x0
                                        ; implicit-def: $vgpr6_vgpr7
	s_mov_b32 s18, 0
.LBB3_557:                              ;   in Loop: Header=BB3_544 Depth=2
	global_load_b64 v[6:7], v53, s[0:1]
	s_add_co_i32 s18, s17, -8
.LBB3_558:                              ;   in Loop: Header=BB3_544 Depth=2
	s_delay_alu instid0(SALU_CYCLE_1)
	s_cmp_gt_u32 s18, 7
	s_cbranch_scc1 .LBB3_563
; %bb.559:                              ;   in Loop: Header=BB3_544 Depth=2
	v_mov_b64_e32 v[8:9], 0
	s_cmp_eq_u32 s18, 0
	s_cbranch_scc1 .LBB3_562
; %bb.560:                              ;   in Loop: Header=BB3_544 Depth=2
	s_wait_xcnt 0x0
	s_mov_b64 s[0:1], 0
	s_mov_b64 s[12:13], 0
.LBB3_561:                              ;   Parent Loop BB3_3 Depth=1
                                        ;     Parent Loop BB3_544 Depth=2
                                        ; =>    This Inner Loop Header: Depth=3
	s_wait_xcnt 0x0
	s_add_nc_u64 s[30:31], s[10:11], s[12:13]
	s_add_nc_u64 s[12:13], s[12:13], 1
	global_load_u8 v10, v53, s[30:31]
	s_cmp_lg_u32 s18, s12
	s_wait_loadcnt 0x0
	v_and_b32_e32 v52, 0xffff, v10
	s_delay_alu instid0(VALU_DEP_1) | instskip(SKIP_1) | instid1(VALU_DEP_1)
	v_lshlrev_b64_e32 v[10:11], s0, v[52:53]
	s_add_nc_u64 s[0:1], s[0:1], 8
	v_or_b32_e32 v8, v10, v8
	s_delay_alu instid0(VALU_DEP_2)
	v_or_b32_e32 v9, v11, v9
	s_cbranch_scc1 .LBB3_561
.LBB3_562:                              ;   in Loop: Header=BB3_544 Depth=2
	s_wait_xcnt 0x0
	s_mov_b64 s[0:1], s[10:11]
	s_mov_b32 s17, 0
	s_cbranch_execz .LBB3_564
	s_branch .LBB3_565
.LBB3_563:                              ;   in Loop: Header=BB3_544 Depth=2
	s_wait_xcnt 0x0
	s_add_nc_u64 s[0:1], s[10:11], 8
	s_mov_b32 s17, 0
.LBB3_564:                              ;   in Loop: Header=BB3_544 Depth=2
	global_load_b64 v[8:9], v53, s[10:11]
	s_add_co_i32 s17, s18, -8
.LBB3_565:                              ;   in Loop: Header=BB3_544 Depth=2
	s_delay_alu instid0(SALU_CYCLE_1)
	s_cmp_gt_u32 s17, 7
	s_cbranch_scc1 .LBB3_570
; %bb.566:                              ;   in Loop: Header=BB3_544 Depth=2
	v_mov_b64_e32 v[10:11], 0
	s_cmp_eq_u32 s17, 0
	s_cbranch_scc1 .LBB3_569
; %bb.567:                              ;   in Loop: Header=BB3_544 Depth=2
	s_wait_xcnt 0x0
	s_mov_b64 s[10:11], 0
	s_mov_b64 s[12:13], 0
.LBB3_568:                              ;   Parent Loop BB3_3 Depth=1
                                        ;     Parent Loop BB3_544 Depth=2
                                        ; =>    This Inner Loop Header: Depth=3
	s_wait_xcnt 0x0
	s_add_nc_u64 s[18:19], s[0:1], s[12:13]
	s_add_nc_u64 s[12:13], s[12:13], 1
	global_load_u8 v12, v53, s[18:19]
	s_cmp_lg_u32 s17, s12
	s_wait_loadcnt 0x0
	v_and_b32_e32 v52, 0xffff, v12
	s_delay_alu instid0(VALU_DEP_1) | instskip(SKIP_1) | instid1(VALU_DEP_1)
	v_lshlrev_b64_e32 v[12:13], s10, v[52:53]
	s_add_nc_u64 s[10:11], s[10:11], 8
	v_or_b32_e32 v10, v12, v10
	s_delay_alu instid0(VALU_DEP_2)
	v_or_b32_e32 v11, v13, v11
	s_cbranch_scc1 .LBB3_568
.LBB3_569:                              ;   in Loop: Header=BB3_544 Depth=2
	s_wait_xcnt 0x0
	s_mov_b64 s[10:11], s[0:1]
	s_mov_b32 s18, 0
	s_cbranch_execz .LBB3_571
	s_branch .LBB3_572
.LBB3_570:                              ;   in Loop: Header=BB3_544 Depth=2
	s_wait_xcnt 0x0
	s_add_nc_u64 s[10:11], s[0:1], 8
                                        ; implicit-def: $vgpr10_vgpr11
	s_mov_b32 s18, 0
.LBB3_571:                              ;   in Loop: Header=BB3_544 Depth=2
	global_load_b64 v[10:11], v53, s[0:1]
	s_add_co_i32 s18, s17, -8
.LBB3_572:                              ;   in Loop: Header=BB3_544 Depth=2
	s_delay_alu instid0(SALU_CYCLE_1)
	s_cmp_gt_u32 s18, 7
	s_cbranch_scc1 .LBB3_577
; %bb.573:                              ;   in Loop: Header=BB3_544 Depth=2
	v_mov_b64_e32 v[12:13], 0
	s_cmp_eq_u32 s18, 0
	s_cbranch_scc1 .LBB3_576
; %bb.574:                              ;   in Loop: Header=BB3_544 Depth=2
	s_wait_xcnt 0x0
	s_mov_b64 s[0:1], 0
	s_mov_b64 s[12:13], 0
.LBB3_575:                              ;   Parent Loop BB3_3 Depth=1
                                        ;     Parent Loop BB3_544 Depth=2
                                        ; =>    This Inner Loop Header: Depth=3
	s_wait_xcnt 0x0
	s_add_nc_u64 s[30:31], s[10:11], s[12:13]
	s_add_nc_u64 s[12:13], s[12:13], 1
	global_load_u8 v14, v53, s[30:31]
	s_cmp_lg_u32 s18, s12
	s_wait_loadcnt 0x0
	v_and_b32_e32 v52, 0xffff, v14
	s_delay_alu instid0(VALU_DEP_1) | instskip(SKIP_1) | instid1(VALU_DEP_1)
	v_lshlrev_b64_e32 v[14:15], s0, v[52:53]
	s_add_nc_u64 s[0:1], s[0:1], 8
	v_or_b32_e32 v12, v14, v12
	s_delay_alu instid0(VALU_DEP_2)
	v_or_b32_e32 v13, v15, v13
	s_cbranch_scc1 .LBB3_575
.LBB3_576:                              ;   in Loop: Header=BB3_544 Depth=2
	s_wait_xcnt 0x0
	s_mov_b64 s[0:1], s[10:11]
	s_mov_b32 s17, 0
	s_cbranch_execz .LBB3_578
	s_branch .LBB3_579
.LBB3_577:                              ;   in Loop: Header=BB3_544 Depth=2
	s_wait_xcnt 0x0
	s_add_nc_u64 s[0:1], s[10:11], 8
	s_mov_b32 s17, 0
.LBB3_578:                              ;   in Loop: Header=BB3_544 Depth=2
	global_load_b64 v[12:13], v53, s[10:11]
	s_add_co_i32 s17, s18, -8
.LBB3_579:                              ;   in Loop: Header=BB3_544 Depth=2
	s_delay_alu instid0(SALU_CYCLE_1)
	s_cmp_gt_u32 s17, 7
	s_cbranch_scc1 .LBB3_584
; %bb.580:                              ;   in Loop: Header=BB3_544 Depth=2
	v_mov_b64_e32 v[14:15], 0
	s_cmp_eq_u32 s17, 0
	s_cbranch_scc1 .LBB3_583
; %bb.581:                              ;   in Loop: Header=BB3_544 Depth=2
	s_wait_xcnt 0x0
	s_mov_b64 s[10:11], 0
	s_mov_b64 s[12:13], 0
.LBB3_582:                              ;   Parent Loop BB3_3 Depth=1
                                        ;     Parent Loop BB3_544 Depth=2
                                        ; =>    This Inner Loop Header: Depth=3
	s_wait_xcnt 0x0
	s_add_nc_u64 s[18:19], s[0:1], s[12:13]
	s_add_nc_u64 s[12:13], s[12:13], 1
	global_load_u8 v16, v53, s[18:19]
	s_cmp_lg_u32 s17, s12
	s_wait_loadcnt 0x0
	v_and_b32_e32 v52, 0xffff, v16
	s_delay_alu instid0(VALU_DEP_1) | instskip(SKIP_1) | instid1(VALU_DEP_1)
	v_lshlrev_b64_e32 v[16:17], s10, v[52:53]
	s_add_nc_u64 s[10:11], s[10:11], 8
	v_or_b32_e32 v14, v16, v14
	s_delay_alu instid0(VALU_DEP_2)
	v_or_b32_e32 v15, v17, v15
	s_cbranch_scc1 .LBB3_582
.LBB3_583:                              ;   in Loop: Header=BB3_544 Depth=2
	s_wait_xcnt 0x0
	s_mov_b64 s[10:11], s[0:1]
	s_mov_b32 s18, 0
	s_cbranch_execz .LBB3_585
	s_branch .LBB3_586
.LBB3_584:                              ;   in Loop: Header=BB3_544 Depth=2
	s_wait_xcnt 0x0
	s_add_nc_u64 s[10:11], s[0:1], 8
                                        ; implicit-def: $vgpr14_vgpr15
	s_mov_b32 s18, 0
.LBB3_585:                              ;   in Loop: Header=BB3_544 Depth=2
	global_load_b64 v[14:15], v53, s[0:1]
	s_add_co_i32 s18, s17, -8
.LBB3_586:                              ;   in Loop: Header=BB3_544 Depth=2
	s_delay_alu instid0(SALU_CYCLE_1)
	s_cmp_gt_u32 s18, 7
	s_cbranch_scc1 .LBB3_591
; %bb.587:                              ;   in Loop: Header=BB3_544 Depth=2
	v_mov_b64_e32 v[16:17], 0
	s_cmp_eq_u32 s18, 0
	s_cbranch_scc1 .LBB3_590
; %bb.588:                              ;   in Loop: Header=BB3_544 Depth=2
	s_wait_xcnt 0x0
	s_mov_b64 s[0:1], 0
	s_mov_b64 s[12:13], s[10:11]
.LBB3_589:                              ;   Parent Loop BB3_3 Depth=1
                                        ;     Parent Loop BB3_544 Depth=2
                                        ; =>    This Inner Loop Header: Depth=3
	global_load_u8 v18, v53, s[12:13]
	s_add_co_i32 s18, s18, -1
	s_wait_xcnt 0x0
	s_add_nc_u64 s[12:13], s[12:13], 1
	s_cmp_lg_u32 s18, 0
	s_wait_loadcnt 0x0
	v_and_b32_e32 v52, 0xffff, v18
	s_delay_alu instid0(VALU_DEP_1) | instskip(SKIP_1) | instid1(VALU_DEP_1)
	v_lshlrev_b64_e32 v[18:19], s0, v[52:53]
	s_add_nc_u64 s[0:1], s[0:1], 8
	v_or_b32_e32 v16, v18, v16
	s_delay_alu instid0(VALU_DEP_2)
	v_or_b32_e32 v17, v19, v17
	s_cbranch_scc1 .LBB3_589
.LBB3_590:                              ;   in Loop: Header=BB3_544 Depth=2
	s_wait_xcnt 0x0
	s_cbranch_execz .LBB3_592
	s_branch .LBB3_593
.LBB3_591:                              ;   in Loop: Header=BB3_544 Depth=2
	s_wait_xcnt 0x0
.LBB3_592:                              ;   in Loop: Header=BB3_544 Depth=2
	global_load_b64 v[16:17], v53, s[10:11]
.LBB3_593:                              ;   in Loop: Header=BB3_544 Depth=2
	v_readfirstlane_b32 s0, v80
	v_mov_b64_e32 v[26:27], 0
	s_delay_alu instid0(VALU_DEP_2)
	v_cmp_eq_u32_e64 s0, s0, v80
	s_wait_xcnt 0x0
	s_and_saveexec_b32 s1, s0
	s_cbranch_execz .LBB3_599
; %bb.594:                              ;   in Loop: Header=BB3_544 Depth=2
	global_load_b64 v[20:21], v53, s[2:3] offset:24 scope:SCOPE_SYS
	s_wait_loadcnt 0x0
	global_inv scope:SCOPE_SYS
	s_clause 0x1
	global_load_b64 v[18:19], v53, s[2:3] offset:40
	global_load_b64 v[26:27], v53, s[2:3]
	s_mov_b32 s10, exec_lo
	s_wait_loadcnt 0x1
	v_and_b32_e32 v18, v18, v20
	v_and_b32_e32 v19, v19, v21
	s_delay_alu instid0(VALU_DEP_1) | instskip(SKIP_1) | instid1(VALU_DEP_1)
	v_mul_u64_e32 v[18:19], 24, v[18:19]
	s_wait_loadcnt 0x0
	v_add_nc_u64_e32 v[18:19], v[26:27], v[18:19]
	global_load_b64 v[18:19], v[18:19], off scope:SCOPE_SYS
	s_wait_xcnt 0x0
	s_wait_loadcnt 0x0
	global_atomic_cmpswap_b64 v[26:27], v53, v[18:21], s[2:3] offset:24 th:TH_ATOMIC_RETURN scope:SCOPE_SYS
	s_wait_loadcnt 0x0
	global_inv scope:SCOPE_SYS
	s_wait_xcnt 0x0
	v_cmpx_ne_u64_e64 v[26:27], v[20:21]
	s_cbranch_execz .LBB3_598
; %bb.595:                              ;   in Loop: Header=BB3_544 Depth=2
	s_mov_b32 s11, 0
.LBB3_596:                              ;   Parent Loop BB3_3 Depth=1
                                        ;     Parent Loop BB3_544 Depth=2
                                        ; =>    This Inner Loop Header: Depth=3
	s_sleep 1
	s_clause 0x1
	global_load_b64 v[18:19], v53, s[2:3] offset:40
	global_load_b64 v[28:29], v53, s[2:3]
	v_mov_b64_e32 v[20:21], v[26:27]
	s_wait_loadcnt 0x1
	s_delay_alu instid0(VALU_DEP_1) | instskip(SKIP_1) | instid1(VALU_DEP_1)
	v_and_b32_e32 v18, v18, v20
	s_wait_loadcnt 0x0
	v_mad_nc_u64_u32 v[26:27], v18, 24, v[28:29]
	s_delay_alu instid0(VALU_DEP_3) | instskip(NEXT) | instid1(VALU_DEP_1)
	v_and_b32_e32 v18, v19, v21
	v_mad_u32 v27, v18, 24, v27
	global_load_b64 v[18:19], v[26:27], off scope:SCOPE_SYS
	s_wait_xcnt 0x0
	s_wait_loadcnt 0x0
	global_atomic_cmpswap_b64 v[26:27], v53, v[18:21], s[2:3] offset:24 th:TH_ATOMIC_RETURN scope:SCOPE_SYS
	s_wait_loadcnt 0x0
	global_inv scope:SCOPE_SYS
	v_cmp_eq_u64_e32 vcc_lo, v[26:27], v[20:21]
	s_or_b32 s11, vcc_lo, s11
	s_wait_xcnt 0x0
	s_and_not1_b32 exec_lo, exec_lo, s11
	s_cbranch_execnz .LBB3_596
; %bb.597:                              ;   in Loop: Header=BB3_544 Depth=2
	s_or_b32 exec_lo, exec_lo, s11
.LBB3_598:                              ;   in Loop: Header=BB3_544 Depth=2
	s_delay_alu instid0(SALU_CYCLE_1)
	s_or_b32 exec_lo, exec_lo, s10
.LBB3_599:                              ;   in Loop: Header=BB3_544 Depth=2
	s_delay_alu instid0(SALU_CYCLE_1)
	s_or_b32 exec_lo, exec_lo, s1
	s_clause 0x1
	global_load_b64 v[28:29], v53, s[2:3] offset:40
	global_load_b128 v[18:21], v53, s[2:3]
	v_readfirstlane_b32 s10, v26
	v_readfirstlane_b32 s11, v27
	s_mov_b32 s1, exec_lo
	s_wait_loadcnt 0x1
	v_and_b32_e32 v28, s10, v28
	v_and_b32_e32 v29, s11, v29
	s_delay_alu instid0(VALU_DEP_1) | instskip(SKIP_1) | instid1(VALU_DEP_1)
	v_mul_u64_e32 v[26:27], 24, v[28:29]
	s_wait_loadcnt 0x0
	v_add_nc_u64_e32 v[26:27], v[18:19], v[26:27]
	s_wait_xcnt 0x0
	s_and_saveexec_b32 s12, s0
	s_cbranch_execz .LBB3_601
; %bb.600:                              ;   in Loop: Header=BB3_544 Depth=2
	v_mov_b32_e32 v52, s1
	global_store_b128 v[26:27], v[52:55], off offset:8
.LBB3_601:                              ;   in Loop: Header=BB3_544 Depth=2
	s_wait_xcnt 0x0
	s_or_b32 exec_lo, exec_lo, s12
	v_cmp_lt_u64_e64 vcc_lo, s[6:7], 57
	v_lshlrev_b64_e32 v[28:29], 12, v[28:29]
	v_and_b32_e32 v2, 0xffffff1f, v2
	s_lshl_b32 s1, s8, 2
	s_delay_alu instid0(SALU_CYCLE_1) | instskip(SKIP_1) | instid1(VALU_DEP_3)
	s_add_co_i32 s1, s1, 28
	v_cndmask_b32_e32 v23, 0, v24, vcc_lo
	v_add_nc_u64_e32 v[20:21], v[20:21], v[28:29]
	s_delay_alu instid0(VALU_DEP_2) | instskip(NEXT) | instid1(VALU_DEP_2)
	v_or_b32_e32 v2, v2, v23
	v_readfirstlane_b32 s12, v20
	s_delay_alu instid0(VALU_DEP_3) | instskip(NEXT) | instid1(VALU_DEP_3)
	v_readfirstlane_b32 s13, v21
	v_and_or_b32 v2, 0x1e0, s1, v2
	s_clause 0x3
	global_store_b128 v22, v[2:5], s[12:13]
	global_store_b128 v22, v[6:9], s[12:13] offset:16
	global_store_b128 v22, v[10:13], s[12:13] offset:32
	global_store_b128 v22, v[14:17], s[12:13] offset:48
	s_wait_xcnt 0x0
	s_and_saveexec_b32 s1, s0
	s_cbranch_execz .LBB3_609
; %bb.602:                              ;   in Loop: Header=BB3_544 Depth=2
	s_clause 0x1
	global_load_b64 v[10:11], v53, s[2:3] offset:32 scope:SCOPE_SYS
	global_load_b64 v[2:3], v53, s[2:3] offset:40
	s_mov_b32 s12, exec_lo
	v_dual_mov_b32 v8, s10 :: v_dual_mov_b32 v9, s11
	s_wait_loadcnt 0x0
	v_and_b32_e32 v3, s11, v3
	v_and_b32_e32 v2, s10, v2
	s_delay_alu instid0(VALU_DEP_1) | instskip(NEXT) | instid1(VALU_DEP_1)
	v_mul_u64_e32 v[2:3], 24, v[2:3]
	v_add_nc_u64_e32 v[6:7], v[18:19], v[2:3]
	global_store_b64 v[6:7], v[10:11], off
	global_wb scope:SCOPE_SYS
	s_wait_storecnt 0x0
	s_wait_xcnt 0x0
	global_atomic_cmpswap_b64 v[4:5], v53, v[8:11], s[2:3] offset:32 th:TH_ATOMIC_RETURN scope:SCOPE_SYS
	s_wait_loadcnt 0x0
	v_cmpx_ne_u64_e64 v[4:5], v[10:11]
	s_cbranch_execz .LBB3_605
; %bb.603:                              ;   in Loop: Header=BB3_544 Depth=2
	s_mov_b32 s13, 0
.LBB3_604:                              ;   Parent Loop BB3_3 Depth=1
                                        ;     Parent Loop BB3_544 Depth=2
                                        ; =>    This Inner Loop Header: Depth=3
	v_dual_mov_b32 v2, s10 :: v_dual_mov_b32 v3, s11
	s_sleep 1
	global_store_b64 v[6:7], v[4:5], off
	global_wb scope:SCOPE_SYS
	s_wait_storecnt 0x0
	s_wait_xcnt 0x0
	global_atomic_cmpswap_b64 v[2:3], v53, v[2:5], s[2:3] offset:32 th:TH_ATOMIC_RETURN scope:SCOPE_SYS
	s_wait_loadcnt 0x0
	v_cmp_eq_u64_e32 vcc_lo, v[2:3], v[4:5]
	v_mov_b64_e32 v[4:5], v[2:3]
	s_or_b32 s13, vcc_lo, s13
	s_delay_alu instid0(SALU_CYCLE_1)
	s_and_not1_b32 exec_lo, exec_lo, s13
	s_cbranch_execnz .LBB3_604
.LBB3_605:                              ;   in Loop: Header=BB3_544 Depth=2
	s_or_b32 exec_lo, exec_lo, s12
	global_load_b64 v[2:3], v53, s[2:3] offset:16
	s_mov_b32 s13, exec_lo
	s_mov_b32 s12, exec_lo
	v_mbcnt_lo_u32_b32 v4, s13, 0
	s_wait_xcnt 0x0
	s_delay_alu instid0(VALU_DEP_1)
	v_cmpx_eq_u32_e32 0, v4
	s_cbranch_execz .LBB3_607
; %bb.606:                              ;   in Loop: Header=BB3_544 Depth=2
	s_bcnt1_i32_b32 s13, s13
	s_delay_alu instid0(SALU_CYCLE_1)
	v_mov_b32_e32 v52, s13
	global_wb scope:SCOPE_SYS
	s_wait_loadcnt 0x0
	s_wait_storecnt 0x0
	global_atomic_add_u64 v[2:3], v[52:53], off offset:8 scope:SCOPE_SYS
.LBB3_607:                              ;   in Loop: Header=BB3_544 Depth=2
	s_wait_xcnt 0x0
	s_or_b32 exec_lo, exec_lo, s12
	s_wait_loadcnt 0x0
	global_load_b64 v[4:5], v[2:3], off offset:16
	s_wait_loadcnt 0x0
	v_cmp_eq_u64_e32 vcc_lo, 0, v[4:5]
	s_cbranch_vccnz .LBB3_609
; %bb.608:                              ;   in Loop: Header=BB3_544 Depth=2
	global_load_b32 v52, v[2:3], off offset:24
	s_wait_loadcnt 0x0
	v_readfirstlane_b32 s12, v52
	global_wb scope:SCOPE_SYS
	s_wait_storecnt 0x0
	s_wait_xcnt 0x0
	global_store_b64 v[4:5], v[52:53], off scope:SCOPE_SYS
	s_and_b32 m0, s12, 0xffffff
	s_sendmsg sendmsg(MSG_INTERRUPT)
.LBB3_609:                              ;   in Loop: Header=BB3_544 Depth=2
	s_wait_xcnt 0x0
	s_or_b32 exec_lo, exec_lo, s1
	v_mov_b32_e32 v23, v53
	s_delay_alu instid0(VALU_DEP_1)
	v_add_nc_u64_e32 v[2:3], v[20:21], v[22:23]
	s_branch .LBB3_613
.LBB3_610:                              ;   in Loop: Header=BB3_613 Depth=3
	s_wait_xcnt 0x0
	s_or_b32 exec_lo, exec_lo, s1
	s_delay_alu instid0(VALU_DEP_1)
	v_readfirstlane_b32 s1, v4
	s_cmp_eq_u32 s1, 0
	s_cbranch_scc1 .LBB3_612
; %bb.611:                              ;   in Loop: Header=BB3_613 Depth=3
	s_sleep 1
	s_cbranch_execnz .LBB3_613
	s_branch .LBB3_615
.LBB3_612:                              ;   in Loop: Header=BB3_544 Depth=2
	s_branch .LBB3_615
.LBB3_613:                              ;   Parent Loop BB3_3 Depth=1
                                        ;     Parent Loop BB3_544 Depth=2
                                        ; =>    This Inner Loop Header: Depth=3
	v_mov_b32_e32 v4, 1
	s_and_saveexec_b32 s1, s0
	s_cbranch_execz .LBB3_610
; %bb.614:                              ;   in Loop: Header=BB3_613 Depth=3
	global_load_b32 v4, v[26:27], off offset:20 scope:SCOPE_SYS
	s_wait_loadcnt 0x0
	global_inv scope:SCOPE_SYS
	v_and_b32_e32 v4, 1, v4
	s_branch .LBB3_610
.LBB3_615:                              ;   in Loop: Header=BB3_544 Depth=2
	global_load_b64 v[2:3], v[2:3], off
	s_wait_xcnt 0x0
	s_and_saveexec_b32 s12, s0
	s_cbranch_execz .LBB3_543
; %bb.616:                              ;   in Loop: Header=BB3_544 Depth=2
	s_clause 0x2
	global_load_b64 v[4:5], v53, s[2:3] offset:40
	global_load_b64 v[12:13], v53, s[2:3] offset:24 scope:SCOPE_SYS
	global_load_b64 v[6:7], v53, s[2:3]
	s_wait_loadcnt 0x2
	v_readfirstlane_b32 s18, v4
	v_readfirstlane_b32 s19, v5
	s_add_nc_u64 s[0:1], s[18:19], 1
	s_delay_alu instid0(SALU_CYCLE_1) | instskip(NEXT) | instid1(SALU_CYCLE_1)
	s_add_nc_u64 s[10:11], s[0:1], s[10:11]
	s_cmp_eq_u64 s[10:11], 0
	s_cselect_b32 s1, s1, s11
	s_cselect_b32 s0, s0, s10
	s_delay_alu instid0(SALU_CYCLE_1) | instskip(SKIP_1) | instid1(SALU_CYCLE_1)
	v_dual_mov_b32 v11, s1 :: v_dual_mov_b32 v10, s0
	s_and_b64 s[10:11], s[0:1], s[18:19]
	s_mul_u64 s[10:11], s[10:11], 24
	s_wait_loadcnt 0x0
	v_add_nc_u64_e32 v[8:9], s[10:11], v[6:7]
	global_store_b64 v[8:9], v[12:13], off
	global_wb scope:SCOPE_SYS
	s_wait_storecnt 0x0
	s_wait_xcnt 0x0
	global_atomic_cmpswap_b64 v[6:7], v53, v[10:13], s[2:3] offset:24 th:TH_ATOMIC_RETURN scope:SCOPE_SYS
	s_wait_loadcnt 0x0
	v_cmp_ne_u64_e32 vcc_lo, v[6:7], v[12:13]
	s_and_b32 exec_lo, exec_lo, vcc_lo
	s_cbranch_execz .LBB3_543
; %bb.617:                              ;   in Loop: Header=BB3_544 Depth=2
	s_mov_b32 s10, 0
.LBB3_618:                              ;   Parent Loop BB3_3 Depth=1
                                        ;     Parent Loop BB3_544 Depth=2
                                        ; =>    This Inner Loop Header: Depth=3
	v_dual_mov_b32 v4, s0 :: v_dual_mov_b32 v5, s1
	s_sleep 1
	global_store_b64 v[8:9], v[6:7], off
	global_wb scope:SCOPE_SYS
	s_wait_storecnt 0x0
	s_wait_xcnt 0x0
	global_atomic_cmpswap_b64 v[4:5], v53, v[4:7], s[2:3] offset:24 th:TH_ATOMIC_RETURN scope:SCOPE_SYS
	s_wait_loadcnt 0x0
	v_cmp_eq_u64_e32 vcc_lo, v[4:5], v[6:7]
	v_mov_b64_e32 v[6:7], v[4:5]
	s_or_b32 s10, vcc_lo, s10
	s_delay_alu instid0(SALU_CYCLE_1)
	s_and_not1_b32 exec_lo, exec_lo, s10
	s_cbranch_execnz .LBB3_618
	s_branch .LBB3_543
.LBB3_619:                              ;   in Loop: Header=BB3_3 Depth=1
	s_branch .LBB3_649
.LBB3_620:                              ;   in Loop: Header=BB3_3 Depth=1
	s_branch .LBB3_782
.LBB3_621:                              ;   in Loop: Header=BB3_3 Depth=1
                                        ; implicit-def: $vgpr2_vgpr3
	s_cbranch_execz .LBB3_649
; %bb.622:                              ;   in Loop: Header=BB3_3 Depth=1
	v_readfirstlane_b32 s0, v80
	s_wait_loadcnt 0x0
	v_mov_b64_e32 v[2:3], 0
	s_delay_alu instid0(VALU_DEP_2)
	v_cmp_eq_u32_e64 s0, s0, v80
	s_and_saveexec_b32 s1, s0
	s_cbranch_execz .LBB3_628
; %bb.623:                              ;   in Loop: Header=BB3_3 Depth=1
	global_load_b64 v[4:5], v53, s[2:3] offset:24 scope:SCOPE_SYS
	s_wait_loadcnt 0x0
	global_inv scope:SCOPE_SYS
	s_clause 0x1
	global_load_b64 v[2:3], v53, s[2:3] offset:40
	global_load_b64 v[6:7], v53, s[2:3]
	s_mov_b32 s4, exec_lo
	s_wait_loadcnt 0x1
	v_and_b32_e32 v2, v2, v4
	v_and_b32_e32 v3, v3, v5
	s_delay_alu instid0(VALU_DEP_1) | instskip(SKIP_1) | instid1(VALU_DEP_1)
	v_mul_u64_e32 v[2:3], 24, v[2:3]
	s_wait_loadcnt 0x0
	v_add_nc_u64_e32 v[2:3], v[6:7], v[2:3]
	global_load_b64 v[2:3], v[2:3], off scope:SCOPE_SYS
	s_wait_xcnt 0x0
	s_wait_loadcnt 0x0
	global_atomic_cmpswap_b64 v[2:3], v53, v[2:5], s[2:3] offset:24 th:TH_ATOMIC_RETURN scope:SCOPE_SYS
	s_wait_loadcnt 0x0
	global_inv scope:SCOPE_SYS
	s_wait_xcnt 0x0
	v_cmpx_ne_u64_e64 v[2:3], v[4:5]
	s_cbranch_execz .LBB3_627
; %bb.624:                              ;   in Loop: Header=BB3_3 Depth=1
	s_mov_b32 s5, 0
.LBB3_625:                              ;   Parent Loop BB3_3 Depth=1
                                        ; =>  This Inner Loop Header: Depth=2
	s_sleep 1
	s_clause 0x1
	global_load_b64 v[6:7], v53, s[2:3] offset:40
	global_load_b64 v[8:9], v53, s[2:3]
	v_mov_b64_e32 v[4:5], v[2:3]
	s_wait_loadcnt 0x1
	s_delay_alu instid0(VALU_DEP_1) | instskip(NEXT) | instid1(VALU_DEP_2)
	v_and_b32_e32 v2, v6, v4
	v_and_b32_e32 v6, v7, v5
	s_wait_loadcnt 0x0
	s_delay_alu instid0(VALU_DEP_2) | instskip(NEXT) | instid1(VALU_DEP_1)
	v_mad_nc_u64_u32 v[2:3], v2, 24, v[8:9]
	v_mad_u32 v3, v6, 24, v3
	global_load_b64 v[2:3], v[2:3], off scope:SCOPE_SYS
	s_wait_xcnt 0x0
	s_wait_loadcnt 0x0
	global_atomic_cmpswap_b64 v[2:3], v53, v[2:5], s[2:3] offset:24 th:TH_ATOMIC_RETURN scope:SCOPE_SYS
	s_wait_loadcnt 0x0
	global_inv scope:SCOPE_SYS
	v_cmp_eq_u64_e32 vcc_lo, v[2:3], v[4:5]
	s_or_b32 s5, vcc_lo, s5
	s_wait_xcnt 0x0
	s_and_not1_b32 exec_lo, exec_lo, s5
	s_cbranch_execnz .LBB3_625
; %bb.626:                              ;   in Loop: Header=BB3_3 Depth=1
	s_or_b32 exec_lo, exec_lo, s5
.LBB3_627:                              ;   in Loop: Header=BB3_3 Depth=1
	s_delay_alu instid0(SALU_CYCLE_1)
	s_or_b32 exec_lo, exec_lo, s4
.LBB3_628:                              ;   in Loop: Header=BB3_3 Depth=1
	s_delay_alu instid0(SALU_CYCLE_1)
	s_or_b32 exec_lo, exec_lo, s1
	s_clause 0x1
	global_load_b64 v[8:9], v53, s[2:3] offset:40
	global_load_b128 v[4:7], v53, s[2:3]
	v_readfirstlane_b32 s4, v2
	v_readfirstlane_b32 s5, v3
	s_mov_b32 s1, exec_lo
	s_wait_loadcnt 0x1
	v_and_b32_e32 v2, s4, v8
	v_and_b32_e32 v3, s5, v9
	s_delay_alu instid0(VALU_DEP_1) | instskip(SKIP_1) | instid1(VALU_DEP_1)
	v_mul_u64_e32 v[8:9], 24, v[2:3]
	s_wait_loadcnt 0x0
	v_add_nc_u64_e32 v[8:9], v[4:5], v[8:9]
	s_wait_xcnt 0x0
	s_and_saveexec_b32 s6, s0
	s_cbranch_execz .LBB3_630
; %bb.629:                              ;   in Loop: Header=BB3_3 Depth=1
	v_mov_b32_e32 v52, s1
	global_store_b128 v[8:9], v[52:55], off offset:8
.LBB3_630:                              ;   in Loop: Header=BB3_3 Depth=1
	s_wait_xcnt 0x0
	s_or_b32 exec_lo, exec_lo, s6
	v_lshlrev_b64_e32 v[2:3], 12, v[2:3]
	s_mov_b32 s17, s16
	s_mov_b32 s18, s16
	;; [unrolled: 1-line block ×3, first 2 shown]
	v_mov_b64_e32 v[10:11], s[16:17]
	v_mov_b64_e32 v[12:13], s[18:19]
	v_and_or_b32 v0, 0xffffff1f, v0, 32
	v_add_nc_u64_e32 v[6:7], v[6:7], v[2:3]
	v_dual_mov_b32 v2, v53 :: v_dual_mov_b32 v3, v53
	s_delay_alu instid0(VALU_DEP_2) | instskip(NEXT) | instid1(VALU_DEP_3)
	v_readfirstlane_b32 s6, v6
	v_readfirstlane_b32 s7, v7
	s_clause 0x3
	global_store_b128 v22, v[0:3], s[6:7]
	global_store_b128 v22, v[10:13], s[6:7] offset:16
	global_store_b128 v22, v[10:13], s[6:7] offset:32
	;; [unrolled: 1-line block ×3, first 2 shown]
	s_wait_xcnt 0x0
	s_and_saveexec_b32 s1, s0
	s_cbranch_execz .LBB3_638
; %bb.631:                              ;   in Loop: Header=BB3_3 Depth=1
	s_clause 0x1
	global_load_b64 v[12:13], v53, s[2:3] offset:32 scope:SCOPE_SYS
	global_load_b64 v[0:1], v53, s[2:3] offset:40
	s_mov_b32 s6, exec_lo
	v_dual_mov_b32 v10, s4 :: v_dual_mov_b32 v11, s5
	s_wait_loadcnt 0x0
	v_and_b32_e32 v1, s5, v1
	v_and_b32_e32 v0, s4, v0
	s_delay_alu instid0(VALU_DEP_1) | instskip(NEXT) | instid1(VALU_DEP_1)
	v_mul_u64_e32 v[0:1], 24, v[0:1]
	v_add_nc_u64_e32 v[4:5], v[4:5], v[0:1]
	global_store_b64 v[4:5], v[12:13], off
	global_wb scope:SCOPE_SYS
	s_wait_storecnt 0x0
	s_wait_xcnt 0x0
	global_atomic_cmpswap_b64 v[2:3], v53, v[10:13], s[2:3] offset:32 th:TH_ATOMIC_RETURN scope:SCOPE_SYS
	s_wait_loadcnt 0x0
	v_cmpx_ne_u64_e64 v[2:3], v[12:13]
	s_cbranch_execz .LBB3_634
; %bb.632:                              ;   in Loop: Header=BB3_3 Depth=1
	s_mov_b32 s7, 0
.LBB3_633:                              ;   Parent Loop BB3_3 Depth=1
                                        ; =>  This Inner Loop Header: Depth=2
	v_dual_mov_b32 v0, s4 :: v_dual_mov_b32 v1, s5
	s_sleep 1
	global_store_b64 v[4:5], v[2:3], off
	global_wb scope:SCOPE_SYS
	s_wait_storecnt 0x0
	s_wait_xcnt 0x0
	global_atomic_cmpswap_b64 v[0:1], v53, v[0:3], s[2:3] offset:32 th:TH_ATOMIC_RETURN scope:SCOPE_SYS
	s_wait_loadcnt 0x0
	v_cmp_eq_u64_e32 vcc_lo, v[0:1], v[2:3]
	v_mov_b64_e32 v[2:3], v[0:1]
	s_or_b32 s7, vcc_lo, s7
	s_delay_alu instid0(SALU_CYCLE_1)
	s_and_not1_b32 exec_lo, exec_lo, s7
	s_cbranch_execnz .LBB3_633
.LBB3_634:                              ;   in Loop: Header=BB3_3 Depth=1
	s_or_b32 exec_lo, exec_lo, s6
	global_load_b64 v[0:1], v53, s[2:3] offset:16
	s_mov_b32 s7, exec_lo
	s_mov_b32 s6, exec_lo
	v_mbcnt_lo_u32_b32 v2, s7, 0
	s_wait_xcnt 0x0
	s_delay_alu instid0(VALU_DEP_1)
	v_cmpx_eq_u32_e32 0, v2
	s_cbranch_execz .LBB3_636
; %bb.635:                              ;   in Loop: Header=BB3_3 Depth=1
	s_bcnt1_i32_b32 s7, s7
	s_delay_alu instid0(SALU_CYCLE_1)
	v_mov_b32_e32 v52, s7
	global_wb scope:SCOPE_SYS
	s_wait_loadcnt 0x0
	s_wait_storecnt 0x0
	global_atomic_add_u64 v[0:1], v[52:53], off offset:8 scope:SCOPE_SYS
.LBB3_636:                              ;   in Loop: Header=BB3_3 Depth=1
	s_wait_xcnt 0x0
	s_or_b32 exec_lo, exec_lo, s6
	s_wait_loadcnt 0x0
	global_load_b64 v[2:3], v[0:1], off offset:16
	s_wait_loadcnt 0x0
	v_cmp_eq_u64_e32 vcc_lo, 0, v[2:3]
	s_cbranch_vccnz .LBB3_638
; %bb.637:                              ;   in Loop: Header=BB3_3 Depth=1
	global_load_b32 v52, v[0:1], off offset:24
	s_wait_loadcnt 0x0
	v_readfirstlane_b32 s6, v52
	global_wb scope:SCOPE_SYS
	s_wait_storecnt 0x0
	s_wait_xcnt 0x0
	global_store_b64 v[2:3], v[52:53], off scope:SCOPE_SYS
	s_and_b32 m0, s6, 0xffffff
	s_sendmsg sendmsg(MSG_INTERRUPT)
.LBB3_638:                              ;   in Loop: Header=BB3_3 Depth=1
	s_wait_xcnt 0x0
	s_or_b32 exec_lo, exec_lo, s1
	v_mov_b32_e32 v23, v53
	s_delay_alu instid0(VALU_DEP_1)
	v_add_nc_u64_e32 v[0:1], v[6:7], v[22:23]
	s_branch .LBB3_642
.LBB3_639:                              ;   in Loop: Header=BB3_642 Depth=2
	s_wait_xcnt 0x0
	s_or_b32 exec_lo, exec_lo, s1
	s_delay_alu instid0(VALU_DEP_1)
	v_readfirstlane_b32 s1, v2
	s_cmp_eq_u32 s1, 0
	s_cbranch_scc1 .LBB3_641
; %bb.640:                              ;   in Loop: Header=BB3_642 Depth=2
	s_sleep 1
	s_cbranch_execnz .LBB3_642
	s_branch .LBB3_644
.LBB3_641:                              ;   in Loop: Header=BB3_3 Depth=1
	s_branch .LBB3_644
.LBB3_642:                              ;   Parent Loop BB3_3 Depth=1
                                        ; =>  This Inner Loop Header: Depth=2
	v_mov_b32_e32 v2, 1
	s_and_saveexec_b32 s1, s0
	s_cbranch_execz .LBB3_639
; %bb.643:                              ;   in Loop: Header=BB3_642 Depth=2
	global_load_b32 v2, v[8:9], off offset:20 scope:SCOPE_SYS
	s_wait_loadcnt 0x0
	global_inv scope:SCOPE_SYS
	v_and_b32_e32 v2, 1, v2
	s_branch .LBB3_639
.LBB3_644:                              ;   in Loop: Header=BB3_3 Depth=1
	global_load_b64 v[2:3], v[0:1], off
	s_wait_xcnt 0x0
	s_and_saveexec_b32 s6, s0
	s_cbranch_execz .LBB3_648
; %bb.645:                              ;   in Loop: Header=BB3_3 Depth=1
	s_clause 0x2
	global_load_b64 v[0:1], v53, s[2:3] offset:40
	global_load_b64 v[8:9], v53, s[2:3] offset:24 scope:SCOPE_SYS
	global_load_b64 v[4:5], v53, s[2:3]
	s_wait_loadcnt 0x2
	v_readfirstlane_b32 s8, v0
	v_readfirstlane_b32 s9, v1
	s_add_nc_u64 s[0:1], s[8:9], 1
	s_delay_alu instid0(SALU_CYCLE_1) | instskip(NEXT) | instid1(SALU_CYCLE_1)
	s_add_nc_u64 s[4:5], s[0:1], s[4:5]
	s_cmp_eq_u64 s[4:5], 0
	s_cselect_b32 s1, s1, s5
	s_cselect_b32 s0, s0, s4
	s_delay_alu instid0(SALU_CYCLE_1) | instskip(SKIP_1) | instid1(SALU_CYCLE_1)
	v_dual_mov_b32 v7, s1 :: v_dual_mov_b32 v6, s0
	s_and_b64 s[4:5], s[0:1], s[8:9]
	s_mul_u64 s[4:5], s[4:5], 24
	s_wait_loadcnt 0x0
	v_add_nc_u64_e32 v[0:1], s[4:5], v[4:5]
	global_store_b64 v[0:1], v[8:9], off
	global_wb scope:SCOPE_SYS
	s_wait_storecnt 0x0
	s_wait_xcnt 0x0
	global_atomic_cmpswap_b64 v[6:7], v53, v[6:9], s[2:3] offset:24 th:TH_ATOMIC_RETURN scope:SCOPE_SYS
	s_wait_loadcnt 0x0
	v_cmp_ne_u64_e32 vcc_lo, v[6:7], v[8:9]
	s_and_b32 exec_lo, exec_lo, vcc_lo
	s_cbranch_execz .LBB3_648
; %bb.646:                              ;   in Loop: Header=BB3_3 Depth=1
	s_mov_b32 s4, 0
.LBB3_647:                              ;   Parent Loop BB3_3 Depth=1
                                        ; =>  This Inner Loop Header: Depth=2
	v_dual_mov_b32 v4, s0 :: v_dual_mov_b32 v5, s1
	s_sleep 1
	global_store_b64 v[0:1], v[6:7], off
	global_wb scope:SCOPE_SYS
	s_wait_storecnt 0x0
	s_wait_xcnt 0x0
	global_atomic_cmpswap_b64 v[4:5], v53, v[4:7], s[2:3] offset:24 th:TH_ATOMIC_RETURN scope:SCOPE_SYS
	s_wait_loadcnt 0x0
	v_cmp_eq_u64_e32 vcc_lo, v[4:5], v[6:7]
	v_mov_b64_e32 v[6:7], v[4:5]
	s_or_b32 s4, vcc_lo, s4
	s_delay_alu instid0(SALU_CYCLE_1)
	s_and_not1_b32 exec_lo, exec_lo, s4
	s_cbranch_execnz .LBB3_647
.LBB3_648:                              ;   in Loop: Header=BB3_3 Depth=1
	s_or_b32 exec_lo, exec_lo, s6
.LBB3_649:                              ;   in Loop: Header=BB3_3 Depth=1
	v_readfirstlane_b32 s0, v80
	s_wait_loadcnt 0x0
	v_mov_b64_e32 v[0:1], 0
	s_delay_alu instid0(VALU_DEP_2)
	v_cmp_eq_u32_e64 s0, s0, v80
	s_and_saveexec_b32 s1, s0
	s_cbranch_execz .LBB3_655
; %bb.650:                              ;   in Loop: Header=BB3_3 Depth=1
	global_load_b64 v[6:7], v53, s[2:3] offset:24 scope:SCOPE_SYS
	s_wait_loadcnt 0x0
	global_inv scope:SCOPE_SYS
	s_clause 0x1
	global_load_b64 v[0:1], v53, s[2:3] offset:40
	global_load_b64 v[4:5], v53, s[2:3]
	s_mov_b32 s4, exec_lo
	s_wait_loadcnt 0x1
	v_and_b32_e32 v0, v0, v6
	v_and_b32_e32 v1, v1, v7
	s_delay_alu instid0(VALU_DEP_1) | instskip(SKIP_1) | instid1(VALU_DEP_1)
	v_mul_u64_e32 v[0:1], 24, v[0:1]
	s_wait_loadcnt 0x0
	v_add_nc_u64_e32 v[0:1], v[4:5], v[0:1]
	global_load_b64 v[4:5], v[0:1], off scope:SCOPE_SYS
	s_wait_xcnt 0x0
	s_wait_loadcnt 0x0
	global_atomic_cmpswap_b64 v[0:1], v53, v[4:7], s[2:3] offset:24 th:TH_ATOMIC_RETURN scope:SCOPE_SYS
	s_wait_loadcnt 0x0
	global_inv scope:SCOPE_SYS
	s_wait_xcnt 0x0
	v_cmpx_ne_u64_e64 v[0:1], v[6:7]
	s_cbranch_execz .LBB3_654
; %bb.651:                              ;   in Loop: Header=BB3_3 Depth=1
	s_mov_b32 s5, 0
.LBB3_652:                              ;   Parent Loop BB3_3 Depth=1
                                        ; =>  This Inner Loop Header: Depth=2
	s_sleep 1
	s_clause 0x1
	global_load_b64 v[4:5], v53, s[2:3] offset:40
	global_load_b64 v[8:9], v53, s[2:3]
	v_mov_b64_e32 v[6:7], v[0:1]
	s_wait_loadcnt 0x1
	s_delay_alu instid0(VALU_DEP_1) | instskip(NEXT) | instid1(VALU_DEP_2)
	v_and_b32_e32 v0, v4, v6
	v_and_b32_e32 v4, v5, v7
	s_wait_loadcnt 0x0
	s_delay_alu instid0(VALU_DEP_2) | instskip(NEXT) | instid1(VALU_DEP_1)
	v_mad_nc_u64_u32 v[0:1], v0, 24, v[8:9]
	v_mad_u32 v1, v4, 24, v1
	global_load_b64 v[4:5], v[0:1], off scope:SCOPE_SYS
	s_wait_xcnt 0x0
	s_wait_loadcnt 0x0
	global_atomic_cmpswap_b64 v[0:1], v53, v[4:7], s[2:3] offset:24 th:TH_ATOMIC_RETURN scope:SCOPE_SYS
	s_wait_loadcnt 0x0
	global_inv scope:SCOPE_SYS
	v_cmp_eq_u64_e32 vcc_lo, v[0:1], v[6:7]
	s_or_b32 s5, vcc_lo, s5
	s_wait_xcnt 0x0
	s_and_not1_b32 exec_lo, exec_lo, s5
	s_cbranch_execnz .LBB3_652
; %bb.653:                              ;   in Loop: Header=BB3_3 Depth=1
	s_or_b32 exec_lo, exec_lo, s5
.LBB3_654:                              ;   in Loop: Header=BB3_3 Depth=1
	s_delay_alu instid0(SALU_CYCLE_1)
	s_or_b32 exec_lo, exec_lo, s4
.LBB3_655:                              ;   in Loop: Header=BB3_3 Depth=1
	s_delay_alu instid0(SALU_CYCLE_1)
	s_or_b32 exec_lo, exec_lo, s1
	s_clause 0x1
	global_load_b64 v[4:5], v53, s[2:3] offset:40
	global_load_b128 v[6:9], v53, s[2:3]
	v_readfirstlane_b32 s4, v0
	v_readfirstlane_b32 s5, v1
	s_mov_b32 s1, exec_lo
	s_wait_loadcnt 0x1
	v_and_b32_e32 v0, s4, v4
	v_and_b32_e32 v1, s5, v5
	s_delay_alu instid0(VALU_DEP_1) | instskip(SKIP_1) | instid1(VALU_DEP_1)
	v_mul_u64_e32 v[4:5], 24, v[0:1]
	s_wait_loadcnt 0x0
	v_add_nc_u64_e32 v[10:11], v[6:7], v[4:5]
	s_wait_xcnt 0x0
	s_and_saveexec_b32 s6, s0
	s_cbranch_execz .LBB3_657
; %bb.656:                              ;   in Loop: Header=BB3_3 Depth=1
	v_mov_b32_e32 v52, s1
	global_store_b128 v[10:11], v[52:55], off offset:8
.LBB3_657:                              ;   in Loop: Header=BB3_3 Depth=1
	s_wait_xcnt 0x0
	s_or_b32 exec_lo, exec_lo, s6
	v_lshlrev_b64_e32 v[0:1], 12, v[0:1]
	s_mov_b32 s17, s16
	s_mov_b32 s18, s16
	s_mov_b32 s19, s16
	v_mov_b64_e32 v[12:13], s[16:17]
	v_mov_b64_e32 v[14:15], s[18:19]
	v_and_or_b32 v2, 0xffffff1f, v2, 32
	v_add_nc_u64_e32 v[8:9], v[8:9], v[0:1]
	v_dual_mov_b32 v4, v50 :: v_dual_mov_b32 v5, v51
	s_delay_alu instid0(VALU_DEP_2) | instskip(NEXT) | instid1(VALU_DEP_3)
	v_readfirstlane_b32 s6, v8
	v_readfirstlane_b32 s7, v9
	s_clause 0x3
	global_store_b128 v22, v[2:5], s[6:7]
	global_store_b128 v22, v[12:15], s[6:7] offset:16
	global_store_b128 v22, v[12:15], s[6:7] offset:32
	;; [unrolled: 1-line block ×3, first 2 shown]
	s_wait_xcnt 0x0
	s_and_saveexec_b32 s1, s0
	s_cbranch_execz .LBB3_665
; %bb.658:                              ;   in Loop: Header=BB3_3 Depth=1
	s_clause 0x1
	global_load_b64 v[14:15], v53, s[2:3] offset:32 scope:SCOPE_SYS
	global_load_b64 v[0:1], v53, s[2:3] offset:40
	s_mov_b32 s6, exec_lo
	v_dual_mov_b32 v12, s4 :: v_dual_mov_b32 v13, s5
	s_wait_loadcnt 0x0
	v_and_b32_e32 v1, s5, v1
	v_and_b32_e32 v0, s4, v0
	s_delay_alu instid0(VALU_DEP_1) | instskip(NEXT) | instid1(VALU_DEP_1)
	v_mul_u64_e32 v[0:1], 24, v[0:1]
	v_add_nc_u64_e32 v[4:5], v[6:7], v[0:1]
	global_store_b64 v[4:5], v[14:15], off
	global_wb scope:SCOPE_SYS
	s_wait_storecnt 0x0
	s_wait_xcnt 0x0
	global_atomic_cmpswap_b64 v[2:3], v53, v[12:15], s[2:3] offset:32 th:TH_ATOMIC_RETURN scope:SCOPE_SYS
	s_wait_loadcnt 0x0
	v_cmpx_ne_u64_e64 v[2:3], v[14:15]
	s_cbranch_execz .LBB3_661
; %bb.659:                              ;   in Loop: Header=BB3_3 Depth=1
	s_mov_b32 s7, 0
.LBB3_660:                              ;   Parent Loop BB3_3 Depth=1
                                        ; =>  This Inner Loop Header: Depth=2
	v_dual_mov_b32 v0, s4 :: v_dual_mov_b32 v1, s5
	s_sleep 1
	global_store_b64 v[4:5], v[2:3], off
	global_wb scope:SCOPE_SYS
	s_wait_storecnt 0x0
	s_wait_xcnt 0x0
	global_atomic_cmpswap_b64 v[0:1], v53, v[0:3], s[2:3] offset:32 th:TH_ATOMIC_RETURN scope:SCOPE_SYS
	s_wait_loadcnt 0x0
	v_cmp_eq_u64_e32 vcc_lo, v[0:1], v[2:3]
	v_mov_b64_e32 v[2:3], v[0:1]
	s_or_b32 s7, vcc_lo, s7
	s_delay_alu instid0(SALU_CYCLE_1)
	s_and_not1_b32 exec_lo, exec_lo, s7
	s_cbranch_execnz .LBB3_660
.LBB3_661:                              ;   in Loop: Header=BB3_3 Depth=1
	s_or_b32 exec_lo, exec_lo, s6
	global_load_b64 v[0:1], v53, s[2:3] offset:16
	s_mov_b32 s7, exec_lo
	s_mov_b32 s6, exec_lo
	v_mbcnt_lo_u32_b32 v2, s7, 0
	s_wait_xcnt 0x0
	s_delay_alu instid0(VALU_DEP_1)
	v_cmpx_eq_u32_e32 0, v2
	s_cbranch_execz .LBB3_663
; %bb.662:                              ;   in Loop: Header=BB3_3 Depth=1
	s_bcnt1_i32_b32 s7, s7
	s_delay_alu instid0(SALU_CYCLE_1)
	v_mov_b32_e32 v52, s7
	global_wb scope:SCOPE_SYS
	s_wait_loadcnt 0x0
	s_wait_storecnt 0x0
	global_atomic_add_u64 v[0:1], v[52:53], off offset:8 scope:SCOPE_SYS
.LBB3_663:                              ;   in Loop: Header=BB3_3 Depth=1
	s_wait_xcnt 0x0
	s_or_b32 exec_lo, exec_lo, s6
	s_wait_loadcnt 0x0
	global_load_b64 v[2:3], v[0:1], off offset:16
	s_wait_loadcnt 0x0
	v_cmp_eq_u64_e32 vcc_lo, 0, v[2:3]
	s_cbranch_vccnz .LBB3_665
; %bb.664:                              ;   in Loop: Header=BB3_3 Depth=1
	global_load_b32 v52, v[0:1], off offset:24
	s_wait_loadcnt 0x0
	v_readfirstlane_b32 s6, v52
	global_wb scope:SCOPE_SYS
	s_wait_storecnt 0x0
	s_wait_xcnt 0x0
	global_store_b64 v[2:3], v[52:53], off scope:SCOPE_SYS
	s_and_b32 m0, s6, 0xffffff
	s_sendmsg sendmsg(MSG_INTERRUPT)
.LBB3_665:                              ;   in Loop: Header=BB3_3 Depth=1
	s_wait_xcnt 0x0
	s_or_b32 exec_lo, exec_lo, s1
	v_mov_b32_e32 v23, v53
	s_delay_alu instid0(VALU_DEP_1)
	v_add_nc_u64_e32 v[0:1], v[8:9], v[22:23]
	s_branch .LBB3_669
.LBB3_666:                              ;   in Loop: Header=BB3_669 Depth=2
	s_wait_xcnt 0x0
	s_or_b32 exec_lo, exec_lo, s1
	s_delay_alu instid0(VALU_DEP_1)
	v_readfirstlane_b32 s1, v2
	s_cmp_eq_u32 s1, 0
	s_cbranch_scc1 .LBB3_668
; %bb.667:                              ;   in Loop: Header=BB3_669 Depth=2
	s_sleep 1
	s_cbranch_execnz .LBB3_669
	s_branch .LBB3_671
.LBB3_668:                              ;   in Loop: Header=BB3_3 Depth=1
	s_branch .LBB3_671
.LBB3_669:                              ;   Parent Loop BB3_3 Depth=1
                                        ; =>  This Inner Loop Header: Depth=2
	v_mov_b32_e32 v2, 1
	s_and_saveexec_b32 s1, s0
	s_cbranch_execz .LBB3_666
; %bb.670:                              ;   in Loop: Header=BB3_669 Depth=2
	global_load_b32 v2, v[10:11], off offset:20 scope:SCOPE_SYS
	s_wait_loadcnt 0x0
	global_inv scope:SCOPE_SYS
	v_and_b32_e32 v2, 1, v2
	s_branch .LBB3_666
.LBB3_671:                              ;   in Loop: Header=BB3_3 Depth=1
	global_load_b64 v[48:49], v[0:1], off
	s_wait_xcnt 0x0
	s_and_saveexec_b32 s6, s0
	s_cbranch_execz .LBB3_675
; %bb.672:                              ;   in Loop: Header=BB3_3 Depth=1
	s_clause 0x2
	global_load_b64 v[0:1], v53, s[2:3] offset:40
	global_load_b64 v[8:9], v53, s[2:3] offset:24 scope:SCOPE_SYS
	global_load_b64 v[2:3], v53, s[2:3]
	s_wait_loadcnt 0x2
	v_readfirstlane_b32 s8, v0
	v_readfirstlane_b32 s9, v1
	s_add_nc_u64 s[0:1], s[8:9], 1
	s_delay_alu instid0(SALU_CYCLE_1) | instskip(NEXT) | instid1(SALU_CYCLE_1)
	s_add_nc_u64 s[4:5], s[0:1], s[4:5]
	s_cmp_eq_u64 s[4:5], 0
	s_cselect_b32 s1, s1, s5
	s_cselect_b32 s0, s0, s4
	s_delay_alu instid0(SALU_CYCLE_1) | instskip(SKIP_1) | instid1(SALU_CYCLE_1)
	v_dual_mov_b32 v7, s1 :: v_dual_mov_b32 v6, s0
	s_and_b64 s[4:5], s[0:1], s[8:9]
	s_mul_u64 s[4:5], s[4:5], 24
	s_wait_loadcnt 0x0
	v_add_nc_u64_e32 v[4:5], s[4:5], v[2:3]
	global_store_b64 v[4:5], v[8:9], off
	global_wb scope:SCOPE_SYS
	s_wait_storecnt 0x0
	s_wait_xcnt 0x0
	global_atomic_cmpswap_b64 v[2:3], v53, v[6:9], s[2:3] offset:24 th:TH_ATOMIC_RETURN scope:SCOPE_SYS
	s_wait_loadcnt 0x0
	v_cmp_ne_u64_e32 vcc_lo, v[2:3], v[8:9]
	s_and_b32 exec_lo, exec_lo, vcc_lo
	s_cbranch_execz .LBB3_675
; %bb.673:                              ;   in Loop: Header=BB3_3 Depth=1
	s_mov_b32 s4, 0
.LBB3_674:                              ;   Parent Loop BB3_3 Depth=1
                                        ; =>  This Inner Loop Header: Depth=2
	v_dual_mov_b32 v0, s0 :: v_dual_mov_b32 v1, s1
	s_sleep 1
	global_store_b64 v[4:5], v[2:3], off
	global_wb scope:SCOPE_SYS
	s_wait_storecnt 0x0
	s_wait_xcnt 0x0
	global_atomic_cmpswap_b64 v[0:1], v53, v[0:3], s[2:3] offset:24 th:TH_ATOMIC_RETURN scope:SCOPE_SYS
	s_wait_loadcnt 0x0
	v_cmp_eq_u64_e32 vcc_lo, v[0:1], v[2:3]
	v_mov_b64_e32 v[2:3], v[0:1]
	s_or_b32 s4, vcc_lo, s4
	s_delay_alu instid0(SALU_CYCLE_1)
	s_and_not1_b32 exec_lo, exec_lo, s4
	s_cbranch_execnz .LBB3_674
.LBB3_675:                              ;   in Loop: Header=BB3_3 Depth=1
	s_or_b32 exec_lo, exec_lo, s6
	v_readfirstlane_b32 s0, v80
	v_mov_b64_e32 v[4:5], 0
	s_delay_alu instid0(VALU_DEP_2)
	v_cmp_eq_u32_e64 s0, s0, v80
	s_and_saveexec_b32 s1, s0
	s_cbranch_execz .LBB3_681
; %bb.676:                              ;   in Loop: Header=BB3_3 Depth=1
	global_load_b64 v[2:3], v53, s[2:3] offset:24 scope:SCOPE_SYS
	s_wait_loadcnt 0x0
	global_inv scope:SCOPE_SYS
	s_clause 0x1
	global_load_b64 v[0:1], v53, s[2:3] offset:40
	global_load_b64 v[4:5], v53, s[2:3]
	s_mov_b32 s4, exec_lo
	s_wait_loadcnt 0x1
	v_and_b32_e32 v0, v0, v2
	v_and_b32_e32 v1, v1, v3
	s_delay_alu instid0(VALU_DEP_1) | instskip(SKIP_1) | instid1(VALU_DEP_1)
	v_mul_u64_e32 v[0:1], 24, v[0:1]
	s_wait_loadcnt 0x0
	v_add_nc_u64_e32 v[0:1], v[4:5], v[0:1]
	global_load_b64 v[0:1], v[0:1], off scope:SCOPE_SYS
	s_wait_xcnt 0x0
	s_wait_loadcnt 0x0
	global_atomic_cmpswap_b64 v[4:5], v53, v[0:3], s[2:3] offset:24 th:TH_ATOMIC_RETURN scope:SCOPE_SYS
	s_wait_loadcnt 0x0
	global_inv scope:SCOPE_SYS
	s_wait_xcnt 0x0
	v_cmpx_ne_u64_e64 v[4:5], v[2:3]
	s_cbranch_execz .LBB3_680
; %bb.677:                              ;   in Loop: Header=BB3_3 Depth=1
	s_mov_b32 s5, 0
.LBB3_678:                              ;   Parent Loop BB3_3 Depth=1
                                        ; =>  This Inner Loop Header: Depth=2
	s_sleep 1
	s_clause 0x1
	global_load_b64 v[0:1], v53, s[2:3] offset:40
	global_load_b64 v[6:7], v53, s[2:3]
	v_mov_b64_e32 v[2:3], v[4:5]
	s_wait_loadcnt 0x1
	s_delay_alu instid0(VALU_DEP_1) | instskip(SKIP_1) | instid1(VALU_DEP_1)
	v_and_b32_e32 v0, v0, v2
	s_wait_loadcnt 0x0
	v_mad_nc_u64_u32 v[4:5], v0, 24, v[6:7]
	s_delay_alu instid0(VALU_DEP_3) | instskip(NEXT) | instid1(VALU_DEP_1)
	v_and_b32_e32 v0, v1, v3
	v_mad_u32 v5, v0, 24, v5
	global_load_b64 v[0:1], v[4:5], off scope:SCOPE_SYS
	s_wait_xcnt 0x0
	s_wait_loadcnt 0x0
	global_atomic_cmpswap_b64 v[4:5], v53, v[0:3], s[2:3] offset:24 th:TH_ATOMIC_RETURN scope:SCOPE_SYS
	s_wait_loadcnt 0x0
	global_inv scope:SCOPE_SYS
	v_cmp_eq_u64_e32 vcc_lo, v[4:5], v[2:3]
	s_or_b32 s5, vcc_lo, s5
	s_wait_xcnt 0x0
	s_and_not1_b32 exec_lo, exec_lo, s5
	s_cbranch_execnz .LBB3_678
; %bb.679:                              ;   in Loop: Header=BB3_3 Depth=1
	s_or_b32 exec_lo, exec_lo, s5
.LBB3_680:                              ;   in Loop: Header=BB3_3 Depth=1
	s_delay_alu instid0(SALU_CYCLE_1)
	s_or_b32 exec_lo, exec_lo, s4
.LBB3_681:                              ;   in Loop: Header=BB3_3 Depth=1
	s_delay_alu instid0(SALU_CYCLE_1)
	s_or_b32 exec_lo, exec_lo, s1
	s_clause 0x1
	global_load_b64 v[6:7], v53, s[2:3] offset:40
	global_load_b128 v[0:3], v53, s[2:3]
	v_readfirstlane_b32 s4, v4
	v_readfirstlane_b32 s5, v5
	s_mov_b32 s1, exec_lo
	s_wait_loadcnt 0x1
	v_and_b32_e32 v6, s4, v6
	v_and_b32_e32 v7, s5, v7
	s_delay_alu instid0(VALU_DEP_1) | instskip(SKIP_1) | instid1(VALU_DEP_1)
	v_mul_u64_e32 v[4:5], 24, v[6:7]
	s_wait_loadcnt 0x0
	v_add_nc_u64_e32 v[4:5], v[0:1], v[4:5]
	s_wait_xcnt 0x0
	s_and_saveexec_b32 s6, s0
	s_cbranch_execz .LBB3_683
; %bb.682:                              ;   in Loop: Header=BB3_3 Depth=1
	v_mov_b32_e32 v52, s1
	global_store_b128 v[4:5], v[52:55], off offset:8
.LBB3_683:                              ;   in Loop: Header=BB3_3 Depth=1
	s_wait_xcnt 0x0
	s_or_b32 exec_lo, exec_lo, s6
	v_lshlrev_b64_e32 v[6:7], 12, v[6:7]
	s_mov_b32 s17, s16
	s_mov_b32 s18, s16
	;; [unrolled: 1-line block ×3, first 2 shown]
	v_mov_b64_e32 v[8:9], s[16:17]
	v_mov_b64_e32 v[10:11], s[18:19]
	v_and_or_b32 v48, 0xffffff1f, v48, 32
	v_add_nc_u64_e32 v[6:7], v[2:3], v[6:7]
	s_delay_alu instid0(VALU_DEP_1) | instskip(NEXT) | instid1(VALU_DEP_2)
	v_readfirstlane_b32 s6, v6
	v_readfirstlane_b32 s7, v7
	s_clause 0x3
	global_store_b128 v22, v[48:51], s[6:7]
	global_store_b128 v22, v[8:11], s[6:7] offset:16
	global_store_b128 v22, v[8:11], s[6:7] offset:32
	;; [unrolled: 1-line block ×3, first 2 shown]
	s_wait_xcnt 0x0
	s_and_saveexec_b32 s1, s0
	s_cbranch_execz .LBB3_691
; %bb.684:                              ;   in Loop: Header=BB3_3 Depth=1
	s_clause 0x1
	global_load_b64 v[12:13], v53, s[2:3] offset:32 scope:SCOPE_SYS
	global_load_b64 v[2:3], v53, s[2:3] offset:40
	s_mov_b32 s6, exec_lo
	v_dual_mov_b32 v10, s4 :: v_dual_mov_b32 v11, s5
	s_wait_loadcnt 0x0
	v_and_b32_e32 v3, s5, v3
	v_and_b32_e32 v2, s4, v2
	s_delay_alu instid0(VALU_DEP_1) | instskip(NEXT) | instid1(VALU_DEP_1)
	v_mul_u64_e32 v[2:3], 24, v[2:3]
	v_add_nc_u64_e32 v[8:9], v[0:1], v[2:3]
	global_store_b64 v[8:9], v[12:13], off
	global_wb scope:SCOPE_SYS
	s_wait_storecnt 0x0
	s_wait_xcnt 0x0
	global_atomic_cmpswap_b64 v[2:3], v53, v[10:13], s[2:3] offset:32 th:TH_ATOMIC_RETURN scope:SCOPE_SYS
	s_wait_loadcnt 0x0
	v_cmpx_ne_u64_e64 v[2:3], v[12:13]
	s_cbranch_execz .LBB3_687
; %bb.685:                              ;   in Loop: Header=BB3_3 Depth=1
	s_mov_b32 s7, 0
.LBB3_686:                              ;   Parent Loop BB3_3 Depth=1
                                        ; =>  This Inner Loop Header: Depth=2
	v_dual_mov_b32 v0, s4 :: v_dual_mov_b32 v1, s5
	s_sleep 1
	global_store_b64 v[8:9], v[2:3], off
	global_wb scope:SCOPE_SYS
	s_wait_storecnt 0x0
	s_wait_xcnt 0x0
	global_atomic_cmpswap_b64 v[0:1], v53, v[0:3], s[2:3] offset:32 th:TH_ATOMIC_RETURN scope:SCOPE_SYS
	s_wait_loadcnt 0x0
	v_cmp_eq_u64_e32 vcc_lo, v[0:1], v[2:3]
	v_mov_b64_e32 v[2:3], v[0:1]
	s_or_b32 s7, vcc_lo, s7
	s_delay_alu instid0(SALU_CYCLE_1)
	s_and_not1_b32 exec_lo, exec_lo, s7
	s_cbranch_execnz .LBB3_686
.LBB3_687:                              ;   in Loop: Header=BB3_3 Depth=1
	s_or_b32 exec_lo, exec_lo, s6
	global_load_b64 v[0:1], v53, s[2:3] offset:16
	s_mov_b32 s7, exec_lo
	s_mov_b32 s6, exec_lo
	v_mbcnt_lo_u32_b32 v2, s7, 0
	s_wait_xcnt 0x0
	s_delay_alu instid0(VALU_DEP_1)
	v_cmpx_eq_u32_e32 0, v2
	s_cbranch_execz .LBB3_689
; %bb.688:                              ;   in Loop: Header=BB3_3 Depth=1
	s_bcnt1_i32_b32 s7, s7
	s_delay_alu instid0(SALU_CYCLE_1)
	v_mov_b32_e32 v52, s7
	global_wb scope:SCOPE_SYS
	s_wait_loadcnt 0x0
	s_wait_storecnt 0x0
	global_atomic_add_u64 v[0:1], v[52:53], off offset:8 scope:SCOPE_SYS
.LBB3_689:                              ;   in Loop: Header=BB3_3 Depth=1
	s_wait_xcnt 0x0
	s_or_b32 exec_lo, exec_lo, s6
	s_wait_loadcnt 0x0
	global_load_b64 v[2:3], v[0:1], off offset:16
	s_wait_loadcnt 0x0
	v_cmp_eq_u64_e32 vcc_lo, 0, v[2:3]
	s_cbranch_vccnz .LBB3_691
; %bb.690:                              ;   in Loop: Header=BB3_3 Depth=1
	global_load_b32 v52, v[0:1], off offset:24
	s_wait_loadcnt 0x0
	v_readfirstlane_b32 s6, v52
	global_wb scope:SCOPE_SYS
	s_wait_storecnt 0x0
	s_wait_xcnt 0x0
	global_store_b64 v[2:3], v[52:53], off scope:SCOPE_SYS
	s_and_b32 m0, s6, 0xffffff
	s_sendmsg sendmsg(MSG_INTERRUPT)
.LBB3_691:                              ;   in Loop: Header=BB3_3 Depth=1
	s_wait_xcnt 0x0
	s_or_b32 exec_lo, exec_lo, s1
	v_mov_b32_e32 v23, v53
	s_delay_alu instid0(VALU_DEP_1)
	v_add_nc_u64_e32 v[0:1], v[6:7], v[22:23]
	s_branch .LBB3_695
.LBB3_692:                              ;   in Loop: Header=BB3_695 Depth=2
	s_wait_xcnt 0x0
	s_or_b32 exec_lo, exec_lo, s1
	s_delay_alu instid0(VALU_DEP_1)
	v_readfirstlane_b32 s1, v2
	s_cmp_eq_u32 s1, 0
	s_cbranch_scc1 .LBB3_694
; %bb.693:                              ;   in Loop: Header=BB3_695 Depth=2
	s_sleep 1
	s_cbranch_execnz .LBB3_695
	s_branch .LBB3_697
.LBB3_694:                              ;   in Loop: Header=BB3_3 Depth=1
	s_branch .LBB3_697
.LBB3_695:                              ;   Parent Loop BB3_3 Depth=1
                                        ; =>  This Inner Loop Header: Depth=2
	v_mov_b32_e32 v2, 1
	s_and_saveexec_b32 s1, s0
	s_cbranch_execz .LBB3_692
; %bb.696:                              ;   in Loop: Header=BB3_695 Depth=2
	global_load_b32 v2, v[4:5], off offset:20 scope:SCOPE_SYS
	s_wait_loadcnt 0x0
	global_inv scope:SCOPE_SYS
	v_and_b32_e32 v2, 1, v2
	s_branch .LBB3_692
.LBB3_697:                              ;   in Loop: Header=BB3_3 Depth=1
	global_load_b64 v[0:1], v[0:1], off
	s_wait_xcnt 0x0
	s_and_saveexec_b32 s6, s0
	s_cbranch_execz .LBB3_701
; %bb.698:                              ;   in Loop: Header=BB3_3 Depth=1
	s_clause 0x2
	global_load_b64 v[2:3], v53, s[2:3] offset:40
	global_load_b64 v[10:11], v53, s[2:3] offset:24 scope:SCOPE_SYS
	global_load_b64 v[4:5], v53, s[2:3]
	s_wait_loadcnt 0x2
	v_readfirstlane_b32 s8, v2
	v_readfirstlane_b32 s9, v3
	s_add_nc_u64 s[0:1], s[8:9], 1
	s_delay_alu instid0(SALU_CYCLE_1) | instskip(NEXT) | instid1(SALU_CYCLE_1)
	s_add_nc_u64 s[4:5], s[0:1], s[4:5]
	s_cmp_eq_u64 s[4:5], 0
	s_cselect_b32 s1, s1, s5
	s_cselect_b32 s0, s0, s4
	s_delay_alu instid0(SALU_CYCLE_1) | instskip(SKIP_1) | instid1(SALU_CYCLE_1)
	v_dual_mov_b32 v9, s1 :: v_dual_mov_b32 v8, s0
	s_and_b64 s[4:5], s[0:1], s[8:9]
	s_mul_u64 s[4:5], s[4:5], 24
	s_wait_loadcnt 0x0
	v_add_nc_u64_e32 v[6:7], s[4:5], v[4:5]
	global_store_b64 v[6:7], v[10:11], off
	global_wb scope:SCOPE_SYS
	s_wait_storecnt 0x0
	s_wait_xcnt 0x0
	global_atomic_cmpswap_b64 v[4:5], v53, v[8:11], s[2:3] offset:24 th:TH_ATOMIC_RETURN scope:SCOPE_SYS
	s_wait_loadcnt 0x0
	v_cmp_ne_u64_e32 vcc_lo, v[4:5], v[10:11]
	s_and_b32 exec_lo, exec_lo, vcc_lo
	s_cbranch_execz .LBB3_701
; %bb.699:                              ;   in Loop: Header=BB3_3 Depth=1
	s_mov_b32 s4, 0
.LBB3_700:                              ;   Parent Loop BB3_3 Depth=1
                                        ; =>  This Inner Loop Header: Depth=2
	v_dual_mov_b32 v2, s0 :: v_dual_mov_b32 v3, s1
	s_sleep 1
	global_store_b64 v[6:7], v[4:5], off
	global_wb scope:SCOPE_SYS
	s_wait_storecnt 0x0
	s_wait_xcnt 0x0
	global_atomic_cmpswap_b64 v[2:3], v53, v[2:5], s[2:3] offset:24 th:TH_ATOMIC_RETURN scope:SCOPE_SYS
	s_wait_loadcnt 0x0
	v_cmp_eq_u64_e32 vcc_lo, v[2:3], v[4:5]
	v_mov_b64_e32 v[4:5], v[2:3]
	s_or_b32 s4, vcc_lo, s4
	s_delay_alu instid0(SALU_CYCLE_1)
	s_and_not1_b32 exec_lo, exec_lo, s4
	s_cbranch_execnz .LBB3_700
.LBB3_701:                              ;   in Loop: Header=BB3_3 Depth=1
	s_or_b32 exec_lo, exec_lo, s6
	v_readfirstlane_b32 s0, v80
	v_mov_b64_e32 v[2:3], 0
	s_delay_alu instid0(VALU_DEP_2)
	v_cmp_eq_u32_e64 s0, s0, v80
	s_and_saveexec_b32 s1, s0
	s_cbranch_execz .LBB3_707
; %bb.702:                              ;   in Loop: Header=BB3_3 Depth=1
	global_load_b64 v[4:5], v53, s[2:3] offset:24 scope:SCOPE_SYS
	s_wait_loadcnt 0x0
	global_inv scope:SCOPE_SYS
	s_clause 0x1
	global_load_b64 v[2:3], v53, s[2:3] offset:40
	global_load_b64 v[6:7], v53, s[2:3]
	s_mov_b32 s4, exec_lo
	s_wait_loadcnt 0x1
	v_and_b32_e32 v2, v2, v4
	v_and_b32_e32 v3, v3, v5
	s_delay_alu instid0(VALU_DEP_1) | instskip(SKIP_1) | instid1(VALU_DEP_1)
	v_mul_u64_e32 v[2:3], 24, v[2:3]
	s_wait_loadcnt 0x0
	v_add_nc_u64_e32 v[2:3], v[6:7], v[2:3]
	global_load_b64 v[2:3], v[2:3], off scope:SCOPE_SYS
	s_wait_xcnt 0x0
	s_wait_loadcnt 0x0
	global_atomic_cmpswap_b64 v[2:3], v53, v[2:5], s[2:3] offset:24 th:TH_ATOMIC_RETURN scope:SCOPE_SYS
	s_wait_loadcnt 0x0
	global_inv scope:SCOPE_SYS
	s_wait_xcnt 0x0
	v_cmpx_ne_u64_e64 v[2:3], v[4:5]
	s_cbranch_execz .LBB3_706
; %bb.703:                              ;   in Loop: Header=BB3_3 Depth=1
	s_mov_b32 s5, 0
.LBB3_704:                              ;   Parent Loop BB3_3 Depth=1
                                        ; =>  This Inner Loop Header: Depth=2
	s_sleep 1
	s_clause 0x1
	global_load_b64 v[6:7], v53, s[2:3] offset:40
	global_load_b64 v[8:9], v53, s[2:3]
	v_mov_b64_e32 v[4:5], v[2:3]
	s_wait_loadcnt 0x1
	s_delay_alu instid0(VALU_DEP_1) | instskip(NEXT) | instid1(VALU_DEP_2)
	v_and_b32_e32 v2, v6, v4
	v_and_b32_e32 v6, v7, v5
	s_wait_loadcnt 0x0
	s_delay_alu instid0(VALU_DEP_2) | instskip(NEXT) | instid1(VALU_DEP_1)
	v_mad_nc_u64_u32 v[2:3], v2, 24, v[8:9]
	v_mad_u32 v3, v6, 24, v3
	global_load_b64 v[2:3], v[2:3], off scope:SCOPE_SYS
	s_wait_xcnt 0x0
	s_wait_loadcnt 0x0
	global_atomic_cmpswap_b64 v[2:3], v53, v[2:5], s[2:3] offset:24 th:TH_ATOMIC_RETURN scope:SCOPE_SYS
	s_wait_loadcnt 0x0
	global_inv scope:SCOPE_SYS
	v_cmp_eq_u64_e32 vcc_lo, v[2:3], v[4:5]
	s_or_b32 s5, vcc_lo, s5
	s_wait_xcnt 0x0
	s_and_not1_b32 exec_lo, exec_lo, s5
	s_cbranch_execnz .LBB3_704
; %bb.705:                              ;   in Loop: Header=BB3_3 Depth=1
	s_or_b32 exec_lo, exec_lo, s5
.LBB3_706:                              ;   in Loop: Header=BB3_3 Depth=1
	s_delay_alu instid0(SALU_CYCLE_1)
	s_or_b32 exec_lo, exec_lo, s4
.LBB3_707:                              ;   in Loop: Header=BB3_3 Depth=1
	s_delay_alu instid0(SALU_CYCLE_1)
	s_or_b32 exec_lo, exec_lo, s1
	s_clause 0x1
	global_load_b64 v[8:9], v53, s[2:3] offset:40
	global_load_b128 v[4:7], v53, s[2:3]
	v_readfirstlane_b32 s4, v2
	v_readfirstlane_b32 s5, v3
	s_mov_b32 s1, exec_lo
	s_wait_loadcnt 0x1
	v_and_b32_e32 v10, s4, v8
	v_and_b32_e32 v11, s5, v9
	s_delay_alu instid0(VALU_DEP_1) | instskip(SKIP_1) | instid1(VALU_DEP_1)
	v_mul_u64_e32 v[2:3], 24, v[10:11]
	s_wait_loadcnt 0x0
	v_add_nc_u64_e32 v[8:9], v[4:5], v[2:3]
	s_wait_xcnt 0x0
	s_and_saveexec_b32 s6, s0
	s_cbranch_execz .LBB3_709
; %bb.708:                              ;   in Loop: Header=BB3_3 Depth=1
	v_mov_b32_e32 v52, s1
	global_store_b128 v[8:9], v[52:55], off offset:8
.LBB3_709:                              ;   in Loop: Header=BB3_3 Depth=1
	s_wait_xcnt 0x0
	s_or_b32 exec_lo, exec_lo, s6
	s_wait_dscnt 0x0
	v_mul_lo_u32 v2, v32, v30
	v_dual_add_nc_u32 v13, v32, v30 :: v_dual_sub_nc_u32 v14, v30, v32
	v_lshlrev_b64_e32 v[10:11], 12, v[10:11]
	s_mov_b32 s17, s16
	s_mov_b32 s18, s16
	;; [unrolled: 1-line block ×3, first 2 shown]
	v_mul_lo_u32 v13, v13, v14
	v_and_or_b32 v0, 0xffffff1f, v0, 32
	s_delay_alu instid0(VALU_DEP_3) | instskip(SKIP_2) | instid1(VALU_DEP_2)
	v_add_nc_u64_e32 v[10:11], v[6:7], v[10:11]
	v_cvt_f32_u32_e32 v3, v2
	v_sub_nc_u32_e32 v12, 0, v2
	v_rcp_iflag_f32_e32 v3, v3
	s_delay_alu instid0(VALU_DEP_3) | instskip(NEXT) | instid1(VALU_DEP_4)
	v_readfirstlane_b32 s6, v10
	v_readfirstlane_b32 s7, v11
	s_delay_alu instid0(TRANS32_DEP_1) | instskip(NEXT) | instid1(VALU_DEP_1)
	v_mul_f32_e32 v3, 0x4f7ffffe, v3
	v_cvt_u32_f32_e32 v3, v3
	s_delay_alu instid0(VALU_DEP_1) | instskip(NEXT) | instid1(VALU_DEP_1)
	v_mul_lo_u32 v12, v12, v3
	v_mul_hi_u32 v12, v3, v12
	s_delay_alu instid0(VALU_DEP_1) | instskip(NEXT) | instid1(VALU_DEP_1)
	v_add_nc_u32_e32 v3, v3, v12
	v_mul_hi_u32 v3, v13, v3
	s_delay_alu instid0(VALU_DEP_1) | instskip(NEXT) | instid1(VALU_DEP_1)
	v_mul_lo_u32 v12, v3, v2
	v_dual_sub_nc_u32 v12, v13, v12 :: v_dual_add_nc_u32 v13, 1, v3
	s_delay_alu instid0(VALU_DEP_1) | instskip(SKIP_1) | instid1(VALU_DEP_2)
	v_sub_nc_u32_e32 v14, v12, v2
	v_cmp_ge_u32_e32 vcc_lo, v12, v2
	v_dual_cndmask_b32 v3, v3, v13 :: v_dual_cndmask_b32 v12, v12, v14
	s_delay_alu instid0(VALU_DEP_1) | instskip(NEXT) | instid1(VALU_DEP_2)
	v_add_nc_u32_e32 v13, 1, v3
	v_cmp_ge_u32_e32 vcc_lo, v12, v2
	s_delay_alu instid0(VALU_DEP_2) | instskip(SKIP_2) | instid1(VALU_DEP_3)
	v_cndmask_b32_e32 v2, v3, v13, vcc_lo
	v_mov_b64_e32 v[12:13], s[16:17]
	v_mov_b64_e32 v[14:15], s[18:19]
	v_cvt_f32_u32_e32 v2, v2
	s_delay_alu instid0(VALU_DEP_1)
	v_cvt_f64_f32_e32 v[2:3], v2
	s_clause 0x3
	global_store_b128 v22, v[0:3], s[6:7]
	global_store_b128 v22, v[12:15], s[6:7] offset:16
	global_store_b128 v22, v[12:15], s[6:7] offset:32
	;; [unrolled: 1-line block ×3, first 2 shown]
	s_wait_xcnt 0x0
	s_and_saveexec_b32 s1, s0
	s_cbranch_execz .LBB3_717
; %bb.710:                              ;   in Loop: Header=BB3_3 Depth=1
	s_clause 0x1
	global_load_b64 v[14:15], v53, s[2:3] offset:32 scope:SCOPE_SYS
	global_load_b64 v[0:1], v53, s[2:3] offset:40
	s_mov_b32 s6, exec_lo
	v_dual_mov_b32 v12, s4 :: v_dual_mov_b32 v13, s5
	s_wait_loadcnt 0x0
	v_and_b32_e32 v1, s5, v1
	v_and_b32_e32 v0, s4, v0
	s_delay_alu instid0(VALU_DEP_1) | instskip(NEXT) | instid1(VALU_DEP_1)
	v_mul_u64_e32 v[0:1], 24, v[0:1]
	v_add_nc_u64_e32 v[0:1], v[4:5], v[0:1]
	global_store_b64 v[0:1], v[14:15], off
	global_wb scope:SCOPE_SYS
	s_wait_storecnt 0x0
	s_wait_xcnt 0x0
	global_atomic_cmpswap_b64 v[6:7], v53, v[12:15], s[2:3] offset:32 th:TH_ATOMIC_RETURN scope:SCOPE_SYS
	s_wait_loadcnt 0x0
	v_cmpx_ne_u64_e64 v[6:7], v[14:15]
	s_cbranch_execz .LBB3_713
; %bb.711:                              ;   in Loop: Header=BB3_3 Depth=1
	s_mov_b32 s7, 0
.LBB3_712:                              ;   Parent Loop BB3_3 Depth=1
                                        ; =>  This Inner Loop Header: Depth=2
	v_dual_mov_b32 v4, s4 :: v_dual_mov_b32 v5, s5
	s_sleep 1
	global_store_b64 v[0:1], v[6:7], off
	global_wb scope:SCOPE_SYS
	s_wait_storecnt 0x0
	s_wait_xcnt 0x0
	global_atomic_cmpswap_b64 v[4:5], v53, v[4:7], s[2:3] offset:32 th:TH_ATOMIC_RETURN scope:SCOPE_SYS
	s_wait_loadcnt 0x0
	v_cmp_eq_u64_e32 vcc_lo, v[4:5], v[6:7]
	v_mov_b64_e32 v[6:7], v[4:5]
	s_or_b32 s7, vcc_lo, s7
	s_delay_alu instid0(SALU_CYCLE_1)
	s_and_not1_b32 exec_lo, exec_lo, s7
	s_cbranch_execnz .LBB3_712
.LBB3_713:                              ;   in Loop: Header=BB3_3 Depth=1
	s_or_b32 exec_lo, exec_lo, s6
	global_load_b64 v[0:1], v53, s[2:3] offset:16
	s_mov_b32 s7, exec_lo
	s_mov_b32 s6, exec_lo
	v_mbcnt_lo_u32_b32 v4, s7, 0
	s_wait_xcnt 0x0
	s_delay_alu instid0(VALU_DEP_1)
	v_cmpx_eq_u32_e32 0, v4
	s_cbranch_execz .LBB3_715
; %bb.714:                              ;   in Loop: Header=BB3_3 Depth=1
	s_bcnt1_i32_b32 s7, s7
	s_delay_alu instid0(SALU_CYCLE_1)
	v_mov_b32_e32 v52, s7
	global_wb scope:SCOPE_SYS
	s_wait_loadcnt 0x0
	s_wait_storecnt 0x0
	global_atomic_add_u64 v[0:1], v[52:53], off offset:8 scope:SCOPE_SYS
.LBB3_715:                              ;   in Loop: Header=BB3_3 Depth=1
	s_wait_xcnt 0x0
	s_or_b32 exec_lo, exec_lo, s6
	s_wait_loadcnt 0x0
	global_load_b64 v[4:5], v[0:1], off offset:16
	s_wait_loadcnt 0x0
	v_cmp_eq_u64_e32 vcc_lo, 0, v[4:5]
	s_cbranch_vccnz .LBB3_717
; %bb.716:                              ;   in Loop: Header=BB3_3 Depth=1
	global_load_b32 v52, v[0:1], off offset:24
	s_wait_loadcnt 0x0
	v_readfirstlane_b32 s6, v52
	global_wb scope:SCOPE_SYS
	s_wait_storecnt 0x0
	s_wait_xcnt 0x0
	global_store_b64 v[4:5], v[52:53], off scope:SCOPE_SYS
	s_and_b32 m0, s6, 0xffffff
	s_sendmsg sendmsg(MSG_INTERRUPT)
.LBB3_717:                              ;   in Loop: Header=BB3_3 Depth=1
	s_wait_xcnt 0x0
	s_or_b32 exec_lo, exec_lo, s1
	v_mov_b32_e32 v23, v53
	s_delay_alu instid0(VALU_DEP_1)
	v_add_nc_u64_e32 v[0:1], v[10:11], v[22:23]
	s_branch .LBB3_721
.LBB3_718:                              ;   in Loop: Header=BB3_721 Depth=2
	s_wait_xcnt 0x0
	s_or_b32 exec_lo, exec_lo, s1
	s_delay_alu instid0(VALU_DEP_1)
	v_readfirstlane_b32 s1, v4
	s_cmp_eq_u32 s1, 0
	s_cbranch_scc1 .LBB3_720
; %bb.719:                              ;   in Loop: Header=BB3_721 Depth=2
	s_sleep 1
	s_cbranch_execnz .LBB3_721
	s_branch .LBB3_723
.LBB3_720:                              ;   in Loop: Header=BB3_3 Depth=1
	s_branch .LBB3_723
.LBB3_721:                              ;   Parent Loop BB3_3 Depth=1
                                        ; =>  This Inner Loop Header: Depth=2
	v_mov_b32_e32 v4, 1
	s_and_saveexec_b32 s1, s0
	s_cbranch_execz .LBB3_718
; %bb.722:                              ;   in Loop: Header=BB3_721 Depth=2
	global_load_b32 v4, v[8:9], off offset:20 scope:SCOPE_SYS
	s_wait_loadcnt 0x0
	global_inv scope:SCOPE_SYS
	v_and_b32_e32 v4, 1, v4
	s_branch .LBB3_718
.LBB3_723:                              ;   in Loop: Header=BB3_3 Depth=1
	global_load_b64 v[0:1], v[0:1], off
	s_wait_xcnt 0x0
	s_and_saveexec_b32 s6, s0
	s_cbranch_execz .LBB3_727
; %bb.724:                              ;   in Loop: Header=BB3_3 Depth=1
	s_clause 0x2
	global_load_b64 v[4:5], v53, s[2:3] offset:40
	global_load_b64 v[12:13], v53, s[2:3] offset:24 scope:SCOPE_SYS
	global_load_b64 v[6:7], v53, s[2:3]
	s_wait_loadcnt 0x2
	v_readfirstlane_b32 s8, v4
	v_readfirstlane_b32 s9, v5
	s_add_nc_u64 s[0:1], s[8:9], 1
	s_delay_alu instid0(SALU_CYCLE_1) | instskip(NEXT) | instid1(SALU_CYCLE_1)
	s_add_nc_u64 s[4:5], s[0:1], s[4:5]
	s_cmp_eq_u64 s[4:5], 0
	s_cselect_b32 s1, s1, s5
	s_cselect_b32 s0, s0, s4
	s_delay_alu instid0(SALU_CYCLE_1) | instskip(SKIP_1) | instid1(SALU_CYCLE_1)
	v_dual_mov_b32 v11, s1 :: v_dual_mov_b32 v10, s0
	s_and_b64 s[4:5], s[0:1], s[8:9]
	s_mul_u64 s[4:5], s[4:5], 24
	s_wait_loadcnt 0x0
	v_add_nc_u64_e32 v[8:9], s[4:5], v[6:7]
	global_store_b64 v[8:9], v[12:13], off
	global_wb scope:SCOPE_SYS
	s_wait_storecnt 0x0
	s_wait_xcnt 0x0
	global_atomic_cmpswap_b64 v[6:7], v53, v[10:13], s[2:3] offset:24 th:TH_ATOMIC_RETURN scope:SCOPE_SYS
	s_wait_loadcnt 0x0
	v_cmp_ne_u64_e32 vcc_lo, v[6:7], v[12:13]
	s_and_b32 exec_lo, exec_lo, vcc_lo
	s_cbranch_execz .LBB3_727
; %bb.725:                              ;   in Loop: Header=BB3_3 Depth=1
	s_mov_b32 s4, 0
.LBB3_726:                              ;   Parent Loop BB3_3 Depth=1
                                        ; =>  This Inner Loop Header: Depth=2
	v_dual_mov_b32 v4, s0 :: v_dual_mov_b32 v5, s1
	s_sleep 1
	global_store_b64 v[8:9], v[6:7], off
	global_wb scope:SCOPE_SYS
	s_wait_storecnt 0x0
	s_wait_xcnt 0x0
	global_atomic_cmpswap_b64 v[4:5], v53, v[4:7], s[2:3] offset:24 th:TH_ATOMIC_RETURN scope:SCOPE_SYS
	s_wait_loadcnt 0x0
	v_cmp_eq_u64_e32 vcc_lo, v[4:5], v[6:7]
	v_mov_b64_e32 v[6:7], v[4:5]
	s_or_b32 s4, vcc_lo, s4
	s_delay_alu instid0(SALU_CYCLE_1)
	s_and_not1_b32 exec_lo, exec_lo, s4
	s_cbranch_execnz .LBB3_726
.LBB3_727:                              ;   in Loop: Header=BB3_3 Depth=1
	s_or_b32 exec_lo, exec_lo, s6
	v_readfirstlane_b32 s0, v80
	v_mov_b64_e32 v[8:9], 0
	s_delay_alu instid0(VALU_DEP_2)
	v_cmp_eq_u32_e64 s0, s0, v80
	s_and_saveexec_b32 s1, s0
	s_cbranch_execz .LBB3_733
; %bb.728:                              ;   in Loop: Header=BB3_3 Depth=1
	global_load_b64 v[6:7], v53, s[2:3] offset:24 scope:SCOPE_SYS
	s_wait_loadcnt 0x0
	global_inv scope:SCOPE_SYS
	s_clause 0x1
	global_load_b64 v[4:5], v53, s[2:3] offset:40
	global_load_b64 v[8:9], v53, s[2:3]
	s_mov_b32 s4, exec_lo
	s_wait_loadcnt 0x1
	v_and_b32_e32 v4, v4, v6
	v_and_b32_e32 v5, v5, v7
	s_delay_alu instid0(VALU_DEP_1) | instskip(SKIP_1) | instid1(VALU_DEP_1)
	v_mul_u64_e32 v[4:5], 24, v[4:5]
	s_wait_loadcnt 0x0
	v_add_nc_u64_e32 v[4:5], v[8:9], v[4:5]
	global_load_b64 v[4:5], v[4:5], off scope:SCOPE_SYS
	s_wait_xcnt 0x0
	s_wait_loadcnt 0x0
	global_atomic_cmpswap_b64 v[8:9], v53, v[4:7], s[2:3] offset:24 th:TH_ATOMIC_RETURN scope:SCOPE_SYS
	s_wait_loadcnt 0x0
	global_inv scope:SCOPE_SYS
	s_wait_xcnt 0x0
	v_cmpx_ne_u64_e64 v[8:9], v[6:7]
	s_cbranch_execz .LBB3_732
; %bb.729:                              ;   in Loop: Header=BB3_3 Depth=1
	s_mov_b32 s5, 0
.LBB3_730:                              ;   Parent Loop BB3_3 Depth=1
                                        ; =>  This Inner Loop Header: Depth=2
	s_sleep 1
	s_clause 0x1
	global_load_b64 v[4:5], v53, s[2:3] offset:40
	global_load_b64 v[10:11], v53, s[2:3]
	v_mov_b64_e32 v[6:7], v[8:9]
	s_wait_loadcnt 0x1
	s_delay_alu instid0(VALU_DEP_1) | instskip(SKIP_1) | instid1(VALU_DEP_1)
	v_and_b32_e32 v4, v4, v6
	s_wait_loadcnt 0x0
	v_mad_nc_u64_u32 v[8:9], v4, 24, v[10:11]
	s_delay_alu instid0(VALU_DEP_3) | instskip(NEXT) | instid1(VALU_DEP_1)
	v_and_b32_e32 v4, v5, v7
	v_mad_u32 v9, v4, 24, v9
	global_load_b64 v[4:5], v[8:9], off scope:SCOPE_SYS
	s_wait_xcnt 0x0
	s_wait_loadcnt 0x0
	global_atomic_cmpswap_b64 v[8:9], v53, v[4:7], s[2:3] offset:24 th:TH_ATOMIC_RETURN scope:SCOPE_SYS
	s_wait_loadcnt 0x0
	global_inv scope:SCOPE_SYS
	v_cmp_eq_u64_e32 vcc_lo, v[8:9], v[6:7]
	s_or_b32 s5, vcc_lo, s5
	s_wait_xcnt 0x0
	s_and_not1_b32 exec_lo, exec_lo, s5
	s_cbranch_execnz .LBB3_730
; %bb.731:                              ;   in Loop: Header=BB3_3 Depth=1
	s_or_b32 exec_lo, exec_lo, s5
.LBB3_732:                              ;   in Loop: Header=BB3_3 Depth=1
	s_delay_alu instid0(SALU_CYCLE_1)
	s_or_b32 exec_lo, exec_lo, s4
.LBB3_733:                              ;   in Loop: Header=BB3_3 Depth=1
	s_delay_alu instid0(SALU_CYCLE_1)
	s_or_b32 exec_lo, exec_lo, s1
	s_clause 0x1
	global_load_b64 v[10:11], v53, s[2:3] offset:40
	global_load_b128 v[4:7], v53, s[2:3]
	v_readfirstlane_b32 s4, v8
	v_readfirstlane_b32 s5, v9
	s_mov_b32 s1, exec_lo
	s_wait_loadcnt 0x1
	v_and_b32_e32 v10, s4, v10
	v_and_b32_e32 v11, s5, v11
	s_delay_alu instid0(VALU_DEP_1) | instskip(SKIP_1) | instid1(VALU_DEP_1)
	v_mul_u64_e32 v[8:9], 24, v[10:11]
	s_wait_loadcnt 0x0
	v_add_nc_u64_e32 v[8:9], v[4:5], v[8:9]
	s_wait_xcnt 0x0
	s_and_saveexec_b32 s6, s0
	s_cbranch_execz .LBB3_735
; %bb.734:                              ;   in Loop: Header=BB3_3 Depth=1
	v_mov_b32_e32 v52, s1
	global_store_b128 v[8:9], v[52:55], off offset:8
.LBB3_735:                              ;   in Loop: Header=BB3_3 Depth=1
	s_wait_xcnt 0x0
	s_or_b32 exec_lo, exec_lo, s6
	v_lshlrev_b64_e32 v[10:11], 12, v[10:11]
	s_mov_b32 s17, s16
	s_mov_b32 s18, s16
	;; [unrolled: 1-line block ×3, first 2 shown]
	v_and_or_b32 v0, 0xffffff1d, v0, 34
	s_delay_alu instid0(VALU_DEP_2) | instskip(SKIP_2) | instid1(VALU_DEP_3)
	v_add_nc_u64_e32 v[6:7], v[6:7], v[10:11]
	v_mov_b64_e32 v[10:11], s[16:17]
	v_mov_b64_e32 v[12:13], s[18:19]
	v_readfirstlane_b32 s6, v6
	s_delay_alu instid0(VALU_DEP_4)
	v_readfirstlane_b32 s7, v7
	s_clause 0x3
	global_store_b128 v22, v[0:3], s[6:7]
	global_store_b128 v22, v[10:13], s[6:7] offset:16
	global_store_b128 v22, v[10:13], s[6:7] offset:32
	;; [unrolled: 1-line block ×3, first 2 shown]
	s_wait_xcnt 0x0
	s_and_saveexec_b32 s1, s0
	s_cbranch_execz .LBB3_743
; %bb.736:                              ;   in Loop: Header=BB3_3 Depth=1
	s_clause 0x1
	global_load_b64 v[12:13], v53, s[2:3] offset:32 scope:SCOPE_SYS
	global_load_b64 v[0:1], v53, s[2:3] offset:40
	s_mov_b32 s6, exec_lo
	v_dual_mov_b32 v10, s4 :: v_dual_mov_b32 v11, s5
	s_wait_loadcnt 0x0
	v_and_b32_e32 v1, s5, v1
	v_and_b32_e32 v0, s4, v0
	s_delay_alu instid0(VALU_DEP_1) | instskip(NEXT) | instid1(VALU_DEP_1)
	v_mul_u64_e32 v[0:1], 24, v[0:1]
	v_add_nc_u64_e32 v[4:5], v[4:5], v[0:1]
	global_store_b64 v[4:5], v[12:13], off
	global_wb scope:SCOPE_SYS
	s_wait_storecnt 0x0
	s_wait_xcnt 0x0
	global_atomic_cmpswap_b64 v[2:3], v53, v[10:13], s[2:3] offset:32 th:TH_ATOMIC_RETURN scope:SCOPE_SYS
	s_wait_loadcnt 0x0
	v_cmpx_ne_u64_e64 v[2:3], v[12:13]
	s_cbranch_execz .LBB3_739
; %bb.737:                              ;   in Loop: Header=BB3_3 Depth=1
	s_mov_b32 s7, 0
.LBB3_738:                              ;   Parent Loop BB3_3 Depth=1
                                        ; =>  This Inner Loop Header: Depth=2
	v_dual_mov_b32 v0, s4 :: v_dual_mov_b32 v1, s5
	s_sleep 1
	global_store_b64 v[4:5], v[2:3], off
	global_wb scope:SCOPE_SYS
	s_wait_storecnt 0x0
	s_wait_xcnt 0x0
	global_atomic_cmpswap_b64 v[0:1], v53, v[0:3], s[2:3] offset:32 th:TH_ATOMIC_RETURN scope:SCOPE_SYS
	s_wait_loadcnt 0x0
	v_cmp_eq_u64_e32 vcc_lo, v[0:1], v[2:3]
	v_mov_b64_e32 v[2:3], v[0:1]
	s_or_b32 s7, vcc_lo, s7
	s_delay_alu instid0(SALU_CYCLE_1)
	s_and_not1_b32 exec_lo, exec_lo, s7
	s_cbranch_execnz .LBB3_738
.LBB3_739:                              ;   in Loop: Header=BB3_3 Depth=1
	s_or_b32 exec_lo, exec_lo, s6
	global_load_b64 v[0:1], v53, s[2:3] offset:16
	s_mov_b32 s7, exec_lo
	s_mov_b32 s6, exec_lo
	v_mbcnt_lo_u32_b32 v2, s7, 0
	s_wait_xcnt 0x0
	s_delay_alu instid0(VALU_DEP_1)
	v_cmpx_eq_u32_e32 0, v2
	s_cbranch_execz .LBB3_741
; %bb.740:                              ;   in Loop: Header=BB3_3 Depth=1
	s_bcnt1_i32_b32 s7, s7
	s_delay_alu instid0(SALU_CYCLE_1)
	v_mov_b32_e32 v52, s7
	global_wb scope:SCOPE_SYS
	s_wait_loadcnt 0x0
	s_wait_storecnt 0x0
	global_atomic_add_u64 v[0:1], v[52:53], off offset:8 scope:SCOPE_SYS
.LBB3_741:                              ;   in Loop: Header=BB3_3 Depth=1
	s_wait_xcnt 0x0
	s_or_b32 exec_lo, exec_lo, s6
	s_wait_loadcnt 0x0
	global_load_b64 v[2:3], v[0:1], off offset:16
	s_wait_loadcnt 0x0
	v_cmp_eq_u64_e32 vcc_lo, 0, v[2:3]
	s_cbranch_vccnz .LBB3_743
; %bb.742:                              ;   in Loop: Header=BB3_3 Depth=1
	global_load_b32 v52, v[0:1], off offset:24
	s_wait_loadcnt 0x0
	v_readfirstlane_b32 s6, v52
	global_wb scope:SCOPE_SYS
	s_wait_storecnt 0x0
	s_wait_xcnt 0x0
	global_store_b64 v[2:3], v[52:53], off scope:SCOPE_SYS
	s_and_b32 m0, s6, 0xffffff
	s_sendmsg sendmsg(MSG_INTERRUPT)
.LBB3_743:                              ;   in Loop: Header=BB3_3 Depth=1
	s_wait_xcnt 0x0
	s_or_b32 exec_lo, exec_lo, s1
	v_mov_b32_e32 v23, v53
	s_delay_alu instid0(VALU_DEP_1)
	v_add_nc_u64_e32 v[0:1], v[6:7], v[22:23]
	s_branch .LBB3_747
.LBB3_744:                              ;   in Loop: Header=BB3_747 Depth=2
	s_wait_xcnt 0x0
	s_or_b32 exec_lo, exec_lo, s1
	s_delay_alu instid0(VALU_DEP_1)
	v_readfirstlane_b32 s1, v2
	s_cmp_eq_u32 s1, 0
	s_cbranch_scc1 .LBB3_746
; %bb.745:                              ;   in Loop: Header=BB3_747 Depth=2
	s_sleep 1
	s_cbranch_execnz .LBB3_747
	s_branch .LBB3_749
.LBB3_746:                              ;   in Loop: Header=BB3_3 Depth=1
	s_branch .LBB3_749
.LBB3_747:                              ;   Parent Loop BB3_3 Depth=1
                                        ; =>  This Inner Loop Header: Depth=2
	v_mov_b32_e32 v2, 1
	s_and_saveexec_b32 s1, s0
	s_cbranch_execz .LBB3_744
; %bb.748:                              ;   in Loop: Header=BB3_747 Depth=2
	global_load_b32 v2, v[8:9], off offset:20 scope:SCOPE_SYS
	s_wait_loadcnt 0x0
	global_inv scope:SCOPE_SYS
	v_and_b32_e32 v2, 1, v2
	s_branch .LBB3_744
.LBB3_749:                              ;   in Loop: Header=BB3_3 Depth=1
	global_load_b64 v[0:1], v[0:1], off
	s_wait_xcnt 0x0
	s_and_saveexec_b32 s6, s0
	s_cbranch_execz .LBB3_753
; %bb.750:                              ;   in Loop: Header=BB3_3 Depth=1
	s_clause 0x2
	global_load_b64 v[2:3], v53, s[2:3] offset:40
	global_load_b64 v[10:11], v53, s[2:3] offset:24 scope:SCOPE_SYS
	global_load_b64 v[4:5], v53, s[2:3]
	s_wait_loadcnt 0x2
	v_readfirstlane_b32 s8, v2
	v_readfirstlane_b32 s9, v3
	s_add_nc_u64 s[0:1], s[8:9], 1
	s_delay_alu instid0(SALU_CYCLE_1) | instskip(NEXT) | instid1(SALU_CYCLE_1)
	s_add_nc_u64 s[4:5], s[0:1], s[4:5]
	s_cmp_eq_u64 s[4:5], 0
	s_cselect_b32 s1, s1, s5
	s_cselect_b32 s0, s0, s4
	s_delay_alu instid0(SALU_CYCLE_1) | instskip(SKIP_1) | instid1(SALU_CYCLE_1)
	v_dual_mov_b32 v9, s1 :: v_dual_mov_b32 v8, s0
	s_and_b64 s[4:5], s[0:1], s[8:9]
	s_mul_u64 s[4:5], s[4:5], 24
	s_wait_loadcnt 0x0
	v_add_nc_u64_e32 v[6:7], s[4:5], v[4:5]
	global_store_b64 v[6:7], v[10:11], off
	global_wb scope:SCOPE_SYS
	s_wait_storecnt 0x0
	s_wait_xcnt 0x0
	global_atomic_cmpswap_b64 v[4:5], v53, v[8:11], s[2:3] offset:24 th:TH_ATOMIC_RETURN scope:SCOPE_SYS
	s_wait_loadcnt 0x0
	v_cmp_ne_u64_e32 vcc_lo, v[4:5], v[10:11]
	s_and_b32 exec_lo, exec_lo, vcc_lo
	s_cbranch_execz .LBB3_753
; %bb.751:                              ;   in Loop: Header=BB3_3 Depth=1
	s_mov_b32 s4, 0
.LBB3_752:                              ;   Parent Loop BB3_3 Depth=1
                                        ; =>  This Inner Loop Header: Depth=2
	v_dual_mov_b32 v2, s0 :: v_dual_mov_b32 v3, s1
	s_sleep 1
	global_store_b64 v[6:7], v[4:5], off
	global_wb scope:SCOPE_SYS
	s_wait_storecnt 0x0
	s_wait_xcnt 0x0
	global_atomic_cmpswap_b64 v[2:3], v53, v[2:5], s[2:3] offset:24 th:TH_ATOMIC_RETURN scope:SCOPE_SYS
	s_wait_loadcnt 0x0
	v_cmp_eq_u64_e32 vcc_lo, v[2:3], v[4:5]
	v_mov_b64_e32 v[4:5], v[2:3]
	s_or_b32 s4, vcc_lo, s4
	s_delay_alu instid0(SALU_CYCLE_1)
	s_and_not1_b32 exec_lo, exec_lo, s4
	s_cbranch_execnz .LBB3_752
.LBB3_753:                              ;   in Loop: Header=BB3_3 Depth=1
	s_or_b32 exec_lo, exec_lo, s6
	s_delay_alu instid0(SALU_CYCLE_1)
	s_or_b32 exec_lo, exec_lo, s56
                                        ; implicit-def: $vgpr30
	s_and_not1_saveexec_b32 s47, s47
	s_cbranch_execnz .LBB3_191
	s_branch .LBB3_511
.LBB3_754:                              ;   in Loop: Header=BB3_3 Depth=1
                                        ; implicit-def: $vgpr2_vgpr3
	s_cbranch_execz .LBB3_782
; %bb.755:                              ;   in Loop: Header=BB3_3 Depth=1
	v_readfirstlane_b32 s0, v80
	s_wait_loadcnt 0x0
	v_mov_b64_e32 v[2:3], 0
	s_delay_alu instid0(VALU_DEP_2)
	v_cmp_eq_u32_e64 s0, s0, v80
	s_and_saveexec_b32 s1, s0
	s_cbranch_execz .LBB3_761
; %bb.756:                              ;   in Loop: Header=BB3_3 Depth=1
	global_load_b64 v[4:5], v53, s[2:3] offset:24 scope:SCOPE_SYS
	s_wait_loadcnt 0x0
	global_inv scope:SCOPE_SYS
	s_clause 0x1
	global_load_b64 v[2:3], v53, s[2:3] offset:40
	global_load_b64 v[6:7], v53, s[2:3]
	s_mov_b32 s4, exec_lo
	s_wait_loadcnt 0x1
	v_and_b32_e32 v2, v2, v4
	v_and_b32_e32 v3, v3, v5
	s_delay_alu instid0(VALU_DEP_1) | instskip(SKIP_1) | instid1(VALU_DEP_1)
	v_mul_u64_e32 v[2:3], 24, v[2:3]
	s_wait_loadcnt 0x0
	v_add_nc_u64_e32 v[2:3], v[6:7], v[2:3]
	global_load_b64 v[2:3], v[2:3], off scope:SCOPE_SYS
	s_wait_xcnt 0x0
	s_wait_loadcnt 0x0
	global_atomic_cmpswap_b64 v[2:3], v53, v[2:5], s[2:3] offset:24 th:TH_ATOMIC_RETURN scope:SCOPE_SYS
	s_wait_loadcnt 0x0
	global_inv scope:SCOPE_SYS
	s_wait_xcnt 0x0
	v_cmpx_ne_u64_e64 v[2:3], v[4:5]
	s_cbranch_execz .LBB3_760
; %bb.757:                              ;   in Loop: Header=BB3_3 Depth=1
	s_mov_b32 s5, 0
.LBB3_758:                              ;   Parent Loop BB3_3 Depth=1
                                        ; =>  This Inner Loop Header: Depth=2
	s_sleep 1
	s_clause 0x1
	global_load_b64 v[6:7], v53, s[2:3] offset:40
	global_load_b64 v[8:9], v53, s[2:3]
	v_mov_b64_e32 v[4:5], v[2:3]
	s_wait_loadcnt 0x1
	s_delay_alu instid0(VALU_DEP_1) | instskip(NEXT) | instid1(VALU_DEP_2)
	v_and_b32_e32 v2, v6, v4
	v_and_b32_e32 v6, v7, v5
	s_wait_loadcnt 0x0
	s_delay_alu instid0(VALU_DEP_2) | instskip(NEXT) | instid1(VALU_DEP_1)
	v_mad_nc_u64_u32 v[2:3], v2, 24, v[8:9]
	v_mad_u32 v3, v6, 24, v3
	global_load_b64 v[2:3], v[2:3], off scope:SCOPE_SYS
	s_wait_xcnt 0x0
	s_wait_loadcnt 0x0
	global_atomic_cmpswap_b64 v[2:3], v53, v[2:5], s[2:3] offset:24 th:TH_ATOMIC_RETURN scope:SCOPE_SYS
	s_wait_loadcnt 0x0
	global_inv scope:SCOPE_SYS
	v_cmp_eq_u64_e32 vcc_lo, v[2:3], v[4:5]
	s_or_b32 s5, vcc_lo, s5
	s_wait_xcnt 0x0
	s_and_not1_b32 exec_lo, exec_lo, s5
	s_cbranch_execnz .LBB3_758
; %bb.759:                              ;   in Loop: Header=BB3_3 Depth=1
	s_or_b32 exec_lo, exec_lo, s5
.LBB3_760:                              ;   in Loop: Header=BB3_3 Depth=1
	s_delay_alu instid0(SALU_CYCLE_1)
	s_or_b32 exec_lo, exec_lo, s4
.LBB3_761:                              ;   in Loop: Header=BB3_3 Depth=1
	s_delay_alu instid0(SALU_CYCLE_1)
	s_or_b32 exec_lo, exec_lo, s1
	s_clause 0x1
	global_load_b64 v[8:9], v53, s[2:3] offset:40
	global_load_b128 v[4:7], v53, s[2:3]
	v_readfirstlane_b32 s4, v2
	v_readfirstlane_b32 s5, v3
	s_mov_b32 s1, exec_lo
	s_wait_loadcnt 0x1
	v_and_b32_e32 v2, s4, v8
	v_and_b32_e32 v3, s5, v9
	s_delay_alu instid0(VALU_DEP_1) | instskip(SKIP_1) | instid1(VALU_DEP_1)
	v_mul_u64_e32 v[8:9], 24, v[2:3]
	s_wait_loadcnt 0x0
	v_add_nc_u64_e32 v[8:9], v[4:5], v[8:9]
	s_wait_xcnt 0x0
	s_and_saveexec_b32 s6, s0
	s_cbranch_execz .LBB3_763
; %bb.762:                              ;   in Loop: Header=BB3_3 Depth=1
	v_mov_b32_e32 v52, s1
	global_store_b128 v[8:9], v[52:55], off offset:8
.LBB3_763:                              ;   in Loop: Header=BB3_3 Depth=1
	s_wait_xcnt 0x0
	s_or_b32 exec_lo, exec_lo, s6
	v_lshlrev_b64_e32 v[2:3], 12, v[2:3]
	s_mov_b32 s17, s16
	s_mov_b32 s18, s16
	s_mov_b32 s19, s16
	v_mov_b64_e32 v[10:11], s[16:17]
	v_mov_b64_e32 v[12:13], s[18:19]
	v_and_or_b32 v0, 0xffffff1f, v0, 32
	v_add_nc_u64_e32 v[6:7], v[6:7], v[2:3]
	v_dual_mov_b32 v2, v53 :: v_dual_mov_b32 v3, v53
	s_delay_alu instid0(VALU_DEP_2) | instskip(NEXT) | instid1(VALU_DEP_3)
	v_readfirstlane_b32 s6, v6
	v_readfirstlane_b32 s7, v7
	s_clause 0x3
	global_store_b128 v22, v[0:3], s[6:7]
	global_store_b128 v22, v[10:13], s[6:7] offset:16
	global_store_b128 v22, v[10:13], s[6:7] offset:32
	;; [unrolled: 1-line block ×3, first 2 shown]
	s_wait_xcnt 0x0
	s_and_saveexec_b32 s1, s0
	s_cbranch_execz .LBB3_771
; %bb.764:                              ;   in Loop: Header=BB3_3 Depth=1
	s_clause 0x1
	global_load_b64 v[12:13], v53, s[2:3] offset:32 scope:SCOPE_SYS
	global_load_b64 v[0:1], v53, s[2:3] offset:40
	s_mov_b32 s6, exec_lo
	v_dual_mov_b32 v10, s4 :: v_dual_mov_b32 v11, s5
	s_wait_loadcnt 0x0
	v_and_b32_e32 v1, s5, v1
	v_and_b32_e32 v0, s4, v0
	s_delay_alu instid0(VALU_DEP_1) | instskip(NEXT) | instid1(VALU_DEP_1)
	v_mul_u64_e32 v[0:1], 24, v[0:1]
	v_add_nc_u64_e32 v[4:5], v[4:5], v[0:1]
	global_store_b64 v[4:5], v[12:13], off
	global_wb scope:SCOPE_SYS
	s_wait_storecnt 0x0
	s_wait_xcnt 0x0
	global_atomic_cmpswap_b64 v[2:3], v53, v[10:13], s[2:3] offset:32 th:TH_ATOMIC_RETURN scope:SCOPE_SYS
	s_wait_loadcnt 0x0
	v_cmpx_ne_u64_e64 v[2:3], v[12:13]
	s_cbranch_execz .LBB3_767
; %bb.765:                              ;   in Loop: Header=BB3_3 Depth=1
	s_mov_b32 s7, 0
.LBB3_766:                              ;   Parent Loop BB3_3 Depth=1
                                        ; =>  This Inner Loop Header: Depth=2
	v_dual_mov_b32 v0, s4 :: v_dual_mov_b32 v1, s5
	s_sleep 1
	global_store_b64 v[4:5], v[2:3], off
	global_wb scope:SCOPE_SYS
	s_wait_storecnt 0x0
	s_wait_xcnt 0x0
	global_atomic_cmpswap_b64 v[0:1], v53, v[0:3], s[2:3] offset:32 th:TH_ATOMIC_RETURN scope:SCOPE_SYS
	s_wait_loadcnt 0x0
	v_cmp_eq_u64_e32 vcc_lo, v[0:1], v[2:3]
	v_mov_b64_e32 v[2:3], v[0:1]
	s_or_b32 s7, vcc_lo, s7
	s_delay_alu instid0(SALU_CYCLE_1)
	s_and_not1_b32 exec_lo, exec_lo, s7
	s_cbranch_execnz .LBB3_766
.LBB3_767:                              ;   in Loop: Header=BB3_3 Depth=1
	s_or_b32 exec_lo, exec_lo, s6
	global_load_b64 v[0:1], v53, s[2:3] offset:16
	s_mov_b32 s7, exec_lo
	s_mov_b32 s6, exec_lo
	v_mbcnt_lo_u32_b32 v2, s7, 0
	s_wait_xcnt 0x0
	s_delay_alu instid0(VALU_DEP_1)
	v_cmpx_eq_u32_e32 0, v2
	s_cbranch_execz .LBB3_769
; %bb.768:                              ;   in Loop: Header=BB3_3 Depth=1
	s_bcnt1_i32_b32 s7, s7
	s_delay_alu instid0(SALU_CYCLE_1)
	v_mov_b32_e32 v52, s7
	global_wb scope:SCOPE_SYS
	s_wait_loadcnt 0x0
	s_wait_storecnt 0x0
	global_atomic_add_u64 v[0:1], v[52:53], off offset:8 scope:SCOPE_SYS
.LBB3_769:                              ;   in Loop: Header=BB3_3 Depth=1
	s_wait_xcnt 0x0
	s_or_b32 exec_lo, exec_lo, s6
	s_wait_loadcnt 0x0
	global_load_b64 v[2:3], v[0:1], off offset:16
	s_wait_loadcnt 0x0
	v_cmp_eq_u64_e32 vcc_lo, 0, v[2:3]
	s_cbranch_vccnz .LBB3_771
; %bb.770:                              ;   in Loop: Header=BB3_3 Depth=1
	global_load_b32 v52, v[0:1], off offset:24
	s_wait_loadcnt 0x0
	v_readfirstlane_b32 s6, v52
	global_wb scope:SCOPE_SYS
	s_wait_storecnt 0x0
	s_wait_xcnt 0x0
	global_store_b64 v[2:3], v[52:53], off scope:SCOPE_SYS
	s_and_b32 m0, s6, 0xffffff
	s_sendmsg sendmsg(MSG_INTERRUPT)
.LBB3_771:                              ;   in Loop: Header=BB3_3 Depth=1
	s_wait_xcnt 0x0
	s_or_b32 exec_lo, exec_lo, s1
	v_mov_b32_e32 v23, v53
	s_delay_alu instid0(VALU_DEP_1)
	v_add_nc_u64_e32 v[0:1], v[6:7], v[22:23]
	s_branch .LBB3_775
.LBB3_772:                              ;   in Loop: Header=BB3_775 Depth=2
	s_wait_xcnt 0x0
	s_or_b32 exec_lo, exec_lo, s1
	s_delay_alu instid0(VALU_DEP_1)
	v_readfirstlane_b32 s1, v2
	s_cmp_eq_u32 s1, 0
	s_cbranch_scc1 .LBB3_774
; %bb.773:                              ;   in Loop: Header=BB3_775 Depth=2
	s_sleep 1
	s_cbranch_execnz .LBB3_775
	s_branch .LBB3_777
.LBB3_774:                              ;   in Loop: Header=BB3_3 Depth=1
	s_branch .LBB3_777
.LBB3_775:                              ;   Parent Loop BB3_3 Depth=1
                                        ; =>  This Inner Loop Header: Depth=2
	v_mov_b32_e32 v2, 1
	s_and_saveexec_b32 s1, s0
	s_cbranch_execz .LBB3_772
; %bb.776:                              ;   in Loop: Header=BB3_775 Depth=2
	global_load_b32 v2, v[8:9], off offset:20 scope:SCOPE_SYS
	s_wait_loadcnt 0x0
	global_inv scope:SCOPE_SYS
	v_and_b32_e32 v2, 1, v2
	s_branch .LBB3_772
.LBB3_777:                              ;   in Loop: Header=BB3_3 Depth=1
	global_load_b64 v[2:3], v[0:1], off
	s_wait_xcnt 0x0
	s_and_saveexec_b32 s6, s0
	s_cbranch_execz .LBB3_781
; %bb.778:                              ;   in Loop: Header=BB3_3 Depth=1
	s_clause 0x2
	global_load_b64 v[0:1], v53, s[2:3] offset:40
	global_load_b64 v[8:9], v53, s[2:3] offset:24 scope:SCOPE_SYS
	global_load_b64 v[4:5], v53, s[2:3]
	s_wait_loadcnt 0x2
	v_readfirstlane_b32 s8, v0
	v_readfirstlane_b32 s9, v1
	s_add_nc_u64 s[0:1], s[8:9], 1
	s_delay_alu instid0(SALU_CYCLE_1) | instskip(NEXT) | instid1(SALU_CYCLE_1)
	s_add_nc_u64 s[4:5], s[0:1], s[4:5]
	s_cmp_eq_u64 s[4:5], 0
	s_cselect_b32 s1, s1, s5
	s_cselect_b32 s0, s0, s4
	s_delay_alu instid0(SALU_CYCLE_1) | instskip(SKIP_1) | instid1(SALU_CYCLE_1)
	v_dual_mov_b32 v7, s1 :: v_dual_mov_b32 v6, s0
	s_and_b64 s[4:5], s[0:1], s[8:9]
	s_mul_u64 s[4:5], s[4:5], 24
	s_wait_loadcnt 0x0
	v_add_nc_u64_e32 v[0:1], s[4:5], v[4:5]
	global_store_b64 v[0:1], v[8:9], off
	global_wb scope:SCOPE_SYS
	s_wait_storecnt 0x0
	s_wait_xcnt 0x0
	global_atomic_cmpswap_b64 v[6:7], v53, v[6:9], s[2:3] offset:24 th:TH_ATOMIC_RETURN scope:SCOPE_SYS
	s_wait_loadcnt 0x0
	v_cmp_ne_u64_e32 vcc_lo, v[6:7], v[8:9]
	s_and_b32 exec_lo, exec_lo, vcc_lo
	s_cbranch_execz .LBB3_781
; %bb.779:                              ;   in Loop: Header=BB3_3 Depth=1
	s_mov_b32 s4, 0
.LBB3_780:                              ;   Parent Loop BB3_3 Depth=1
                                        ; =>  This Inner Loop Header: Depth=2
	v_dual_mov_b32 v4, s0 :: v_dual_mov_b32 v5, s1
	s_sleep 1
	global_store_b64 v[0:1], v[6:7], off
	global_wb scope:SCOPE_SYS
	s_wait_storecnt 0x0
	s_wait_xcnt 0x0
	global_atomic_cmpswap_b64 v[4:5], v53, v[4:7], s[2:3] offset:24 th:TH_ATOMIC_RETURN scope:SCOPE_SYS
	s_wait_loadcnt 0x0
	v_cmp_eq_u64_e32 vcc_lo, v[4:5], v[6:7]
	v_mov_b64_e32 v[6:7], v[4:5]
	s_or_b32 s4, vcc_lo, s4
	s_delay_alu instid0(SALU_CYCLE_1)
	s_and_not1_b32 exec_lo, exec_lo, s4
	s_cbranch_execnz .LBB3_780
.LBB3_781:                              ;   in Loop: Header=BB3_3 Depth=1
	s_or_b32 exec_lo, exec_lo, s6
.LBB3_782:                              ;   in Loop: Header=BB3_3 Depth=1
	v_readfirstlane_b32 s0, v80
	s_wait_loadcnt 0x0
	v_mov_b64_e32 v[0:1], 0
	s_delay_alu instid0(VALU_DEP_2)
	v_cmp_eq_u32_e64 s0, s0, v80
	s_and_saveexec_b32 s1, s0
	s_cbranch_execz .LBB3_788
; %bb.783:                              ;   in Loop: Header=BB3_3 Depth=1
	global_load_b64 v[6:7], v53, s[2:3] offset:24 scope:SCOPE_SYS
	s_wait_loadcnt 0x0
	global_inv scope:SCOPE_SYS
	s_clause 0x1
	global_load_b64 v[0:1], v53, s[2:3] offset:40
	global_load_b64 v[4:5], v53, s[2:3]
	s_mov_b32 s4, exec_lo
	s_wait_loadcnt 0x1
	v_and_b32_e32 v0, v0, v6
	v_and_b32_e32 v1, v1, v7
	s_delay_alu instid0(VALU_DEP_1) | instskip(SKIP_1) | instid1(VALU_DEP_1)
	v_mul_u64_e32 v[0:1], 24, v[0:1]
	s_wait_loadcnt 0x0
	v_add_nc_u64_e32 v[0:1], v[4:5], v[0:1]
	global_load_b64 v[4:5], v[0:1], off scope:SCOPE_SYS
	s_wait_xcnt 0x0
	s_wait_loadcnt 0x0
	global_atomic_cmpswap_b64 v[0:1], v53, v[4:7], s[2:3] offset:24 th:TH_ATOMIC_RETURN scope:SCOPE_SYS
	s_wait_loadcnt 0x0
	global_inv scope:SCOPE_SYS
	s_wait_xcnt 0x0
	v_cmpx_ne_u64_e64 v[0:1], v[6:7]
	s_cbranch_execz .LBB3_787
; %bb.784:                              ;   in Loop: Header=BB3_3 Depth=1
	s_mov_b32 s5, 0
.LBB3_785:                              ;   Parent Loop BB3_3 Depth=1
                                        ; =>  This Inner Loop Header: Depth=2
	s_sleep 1
	s_clause 0x1
	global_load_b64 v[4:5], v53, s[2:3] offset:40
	global_load_b64 v[8:9], v53, s[2:3]
	v_mov_b64_e32 v[6:7], v[0:1]
	s_wait_loadcnt 0x1
	s_delay_alu instid0(VALU_DEP_1) | instskip(NEXT) | instid1(VALU_DEP_2)
	v_and_b32_e32 v0, v4, v6
	v_and_b32_e32 v4, v5, v7
	s_wait_loadcnt 0x0
	s_delay_alu instid0(VALU_DEP_2) | instskip(NEXT) | instid1(VALU_DEP_1)
	v_mad_nc_u64_u32 v[0:1], v0, 24, v[8:9]
	v_mad_u32 v1, v4, 24, v1
	global_load_b64 v[4:5], v[0:1], off scope:SCOPE_SYS
	s_wait_xcnt 0x0
	s_wait_loadcnt 0x0
	global_atomic_cmpswap_b64 v[0:1], v53, v[4:7], s[2:3] offset:24 th:TH_ATOMIC_RETURN scope:SCOPE_SYS
	s_wait_loadcnt 0x0
	global_inv scope:SCOPE_SYS
	v_cmp_eq_u64_e32 vcc_lo, v[0:1], v[6:7]
	s_or_b32 s5, vcc_lo, s5
	s_wait_xcnt 0x0
	s_and_not1_b32 exec_lo, exec_lo, s5
	s_cbranch_execnz .LBB3_785
; %bb.786:                              ;   in Loop: Header=BB3_3 Depth=1
	s_or_b32 exec_lo, exec_lo, s5
.LBB3_787:                              ;   in Loop: Header=BB3_3 Depth=1
	s_delay_alu instid0(SALU_CYCLE_1)
	s_or_b32 exec_lo, exec_lo, s4
.LBB3_788:                              ;   in Loop: Header=BB3_3 Depth=1
	s_delay_alu instid0(SALU_CYCLE_1)
	s_or_b32 exec_lo, exec_lo, s1
	s_clause 0x1
	global_load_b64 v[4:5], v53, s[2:3] offset:40
	global_load_b128 v[6:9], v53, s[2:3]
	v_readfirstlane_b32 s4, v0
	v_readfirstlane_b32 s5, v1
	s_mov_b32 s1, exec_lo
	s_wait_loadcnt 0x1
	v_and_b32_e32 v0, s4, v4
	v_and_b32_e32 v1, s5, v5
	s_delay_alu instid0(VALU_DEP_1) | instskip(SKIP_1) | instid1(VALU_DEP_1)
	v_mul_u64_e32 v[4:5], 24, v[0:1]
	s_wait_loadcnt 0x0
	v_add_nc_u64_e32 v[10:11], v[6:7], v[4:5]
	s_wait_xcnt 0x0
	s_and_saveexec_b32 s6, s0
	s_cbranch_execz .LBB3_790
; %bb.789:                              ;   in Loop: Header=BB3_3 Depth=1
	v_mov_b32_e32 v52, s1
	global_store_b128 v[10:11], v[52:55], off offset:8
.LBB3_790:                              ;   in Loop: Header=BB3_3 Depth=1
	s_wait_xcnt 0x0
	s_or_b32 exec_lo, exec_lo, s6
	v_lshlrev_b64_e32 v[0:1], 12, v[0:1]
	s_mov_b32 s17, s16
	s_mov_b32 s18, s16
	;; [unrolled: 1-line block ×3, first 2 shown]
	v_mov_b64_e32 v[12:13], s[16:17]
	v_mov_b64_e32 v[14:15], s[18:19]
	v_and_or_b32 v2, 0xffffff1f, v2, 32
	v_add_nc_u64_e32 v[8:9], v[8:9], v[0:1]
	v_dual_mov_b32 v4, v50 :: v_dual_mov_b32 v5, v51
	s_delay_alu instid0(VALU_DEP_2) | instskip(NEXT) | instid1(VALU_DEP_3)
	v_readfirstlane_b32 s6, v8
	v_readfirstlane_b32 s7, v9
	s_clause 0x3
	global_store_b128 v22, v[2:5], s[6:7]
	global_store_b128 v22, v[12:15], s[6:7] offset:16
	global_store_b128 v22, v[12:15], s[6:7] offset:32
	;; [unrolled: 1-line block ×3, first 2 shown]
	s_wait_xcnt 0x0
	s_and_saveexec_b32 s1, s0
	s_cbranch_execz .LBB3_798
; %bb.791:                              ;   in Loop: Header=BB3_3 Depth=1
	s_clause 0x1
	global_load_b64 v[14:15], v53, s[2:3] offset:32 scope:SCOPE_SYS
	global_load_b64 v[0:1], v53, s[2:3] offset:40
	s_mov_b32 s6, exec_lo
	v_dual_mov_b32 v12, s4 :: v_dual_mov_b32 v13, s5
	s_wait_loadcnt 0x0
	v_and_b32_e32 v1, s5, v1
	v_and_b32_e32 v0, s4, v0
	s_delay_alu instid0(VALU_DEP_1) | instskip(NEXT) | instid1(VALU_DEP_1)
	v_mul_u64_e32 v[0:1], 24, v[0:1]
	v_add_nc_u64_e32 v[4:5], v[6:7], v[0:1]
	global_store_b64 v[4:5], v[14:15], off
	global_wb scope:SCOPE_SYS
	s_wait_storecnt 0x0
	s_wait_xcnt 0x0
	global_atomic_cmpswap_b64 v[2:3], v53, v[12:15], s[2:3] offset:32 th:TH_ATOMIC_RETURN scope:SCOPE_SYS
	s_wait_loadcnt 0x0
	v_cmpx_ne_u64_e64 v[2:3], v[14:15]
	s_cbranch_execz .LBB3_794
; %bb.792:                              ;   in Loop: Header=BB3_3 Depth=1
	s_mov_b32 s7, 0
.LBB3_793:                              ;   Parent Loop BB3_3 Depth=1
                                        ; =>  This Inner Loop Header: Depth=2
	v_dual_mov_b32 v0, s4 :: v_dual_mov_b32 v1, s5
	s_sleep 1
	global_store_b64 v[4:5], v[2:3], off
	global_wb scope:SCOPE_SYS
	s_wait_storecnt 0x0
	s_wait_xcnt 0x0
	global_atomic_cmpswap_b64 v[0:1], v53, v[0:3], s[2:3] offset:32 th:TH_ATOMIC_RETURN scope:SCOPE_SYS
	s_wait_loadcnt 0x0
	v_cmp_eq_u64_e32 vcc_lo, v[0:1], v[2:3]
	v_mov_b64_e32 v[2:3], v[0:1]
	s_or_b32 s7, vcc_lo, s7
	s_delay_alu instid0(SALU_CYCLE_1)
	s_and_not1_b32 exec_lo, exec_lo, s7
	s_cbranch_execnz .LBB3_793
.LBB3_794:                              ;   in Loop: Header=BB3_3 Depth=1
	s_or_b32 exec_lo, exec_lo, s6
	global_load_b64 v[0:1], v53, s[2:3] offset:16
	s_mov_b32 s7, exec_lo
	s_mov_b32 s6, exec_lo
	v_mbcnt_lo_u32_b32 v2, s7, 0
	s_wait_xcnt 0x0
	s_delay_alu instid0(VALU_DEP_1)
	v_cmpx_eq_u32_e32 0, v2
	s_cbranch_execz .LBB3_796
; %bb.795:                              ;   in Loop: Header=BB3_3 Depth=1
	s_bcnt1_i32_b32 s7, s7
	s_delay_alu instid0(SALU_CYCLE_1)
	v_mov_b32_e32 v52, s7
	global_wb scope:SCOPE_SYS
	s_wait_loadcnt 0x0
	s_wait_storecnt 0x0
	global_atomic_add_u64 v[0:1], v[52:53], off offset:8 scope:SCOPE_SYS
.LBB3_796:                              ;   in Loop: Header=BB3_3 Depth=1
	s_wait_xcnt 0x0
	s_or_b32 exec_lo, exec_lo, s6
	s_wait_loadcnt 0x0
	global_load_b64 v[2:3], v[0:1], off offset:16
	s_wait_loadcnt 0x0
	v_cmp_eq_u64_e32 vcc_lo, 0, v[2:3]
	s_cbranch_vccnz .LBB3_798
; %bb.797:                              ;   in Loop: Header=BB3_3 Depth=1
	global_load_b32 v52, v[0:1], off offset:24
	s_wait_loadcnt 0x0
	v_readfirstlane_b32 s6, v52
	global_wb scope:SCOPE_SYS
	s_wait_storecnt 0x0
	s_wait_xcnt 0x0
	global_store_b64 v[2:3], v[52:53], off scope:SCOPE_SYS
	s_and_b32 m0, s6, 0xffffff
	s_sendmsg sendmsg(MSG_INTERRUPT)
.LBB3_798:                              ;   in Loop: Header=BB3_3 Depth=1
	s_wait_xcnt 0x0
	s_or_b32 exec_lo, exec_lo, s1
	v_mov_b32_e32 v23, v53
	s_delay_alu instid0(VALU_DEP_1)
	v_add_nc_u64_e32 v[0:1], v[8:9], v[22:23]
	s_branch .LBB3_802
.LBB3_799:                              ;   in Loop: Header=BB3_802 Depth=2
	s_wait_xcnt 0x0
	s_or_b32 exec_lo, exec_lo, s1
	s_delay_alu instid0(VALU_DEP_1)
	v_readfirstlane_b32 s1, v2
	s_cmp_eq_u32 s1, 0
	s_cbranch_scc1 .LBB3_801
; %bb.800:                              ;   in Loop: Header=BB3_802 Depth=2
	s_sleep 1
	s_cbranch_execnz .LBB3_802
	s_branch .LBB3_804
.LBB3_801:                              ;   in Loop: Header=BB3_3 Depth=1
	s_branch .LBB3_804
.LBB3_802:                              ;   Parent Loop BB3_3 Depth=1
                                        ; =>  This Inner Loop Header: Depth=2
	v_mov_b32_e32 v2, 1
	s_and_saveexec_b32 s1, s0
	s_cbranch_execz .LBB3_799
; %bb.803:                              ;   in Loop: Header=BB3_802 Depth=2
	global_load_b32 v2, v[10:11], off offset:20 scope:SCOPE_SYS
	s_wait_loadcnt 0x0
	global_inv scope:SCOPE_SYS
	v_and_b32_e32 v2, 1, v2
	s_branch .LBB3_799
.LBB3_804:                              ;   in Loop: Header=BB3_3 Depth=1
	global_load_b64 v[2:3], v[0:1], off
	s_wait_xcnt 0x0
	s_and_saveexec_b32 s6, s0
	s_cbranch_execz .LBB3_808
; %bb.805:                              ;   in Loop: Header=BB3_3 Depth=1
	s_clause 0x2
	global_load_b64 v[0:1], v53, s[2:3] offset:40
	global_load_b64 v[8:9], v53, s[2:3] offset:24 scope:SCOPE_SYS
	global_load_b64 v[4:5], v53, s[2:3]
	s_wait_loadcnt 0x2
	v_readfirstlane_b32 s8, v0
	v_readfirstlane_b32 s9, v1
	s_add_nc_u64 s[0:1], s[8:9], 1
	s_delay_alu instid0(SALU_CYCLE_1) | instskip(NEXT) | instid1(SALU_CYCLE_1)
	s_add_nc_u64 s[4:5], s[0:1], s[4:5]
	s_cmp_eq_u64 s[4:5], 0
	s_cselect_b32 s1, s1, s5
	s_cselect_b32 s0, s0, s4
	s_delay_alu instid0(SALU_CYCLE_1) | instskip(SKIP_1) | instid1(SALU_CYCLE_1)
	v_dual_mov_b32 v7, s1 :: v_dual_mov_b32 v6, s0
	s_and_b64 s[4:5], s[0:1], s[8:9]
	s_mul_u64 s[4:5], s[4:5], 24
	s_wait_loadcnt 0x0
	v_add_nc_u64_e32 v[0:1], s[4:5], v[4:5]
	global_store_b64 v[0:1], v[8:9], off
	global_wb scope:SCOPE_SYS
	s_wait_storecnt 0x0
	s_wait_xcnt 0x0
	global_atomic_cmpswap_b64 v[6:7], v53, v[6:9], s[2:3] offset:24 th:TH_ATOMIC_RETURN scope:SCOPE_SYS
	s_wait_loadcnt 0x0
	v_cmp_ne_u64_e32 vcc_lo, v[6:7], v[8:9]
	s_and_b32 exec_lo, exec_lo, vcc_lo
	s_cbranch_execz .LBB3_808
; %bb.806:                              ;   in Loop: Header=BB3_3 Depth=1
	s_mov_b32 s4, 0
.LBB3_807:                              ;   Parent Loop BB3_3 Depth=1
                                        ; =>  This Inner Loop Header: Depth=2
	v_dual_mov_b32 v4, s0 :: v_dual_mov_b32 v5, s1
	s_sleep 1
	global_store_b64 v[0:1], v[6:7], off
	global_wb scope:SCOPE_SYS
	s_wait_storecnt 0x0
	s_wait_xcnt 0x0
	global_atomic_cmpswap_b64 v[4:5], v53, v[4:7], s[2:3] offset:24 th:TH_ATOMIC_RETURN scope:SCOPE_SYS
	s_wait_loadcnt 0x0
	v_cmp_eq_u64_e32 vcc_lo, v[4:5], v[6:7]
	v_mov_b64_e32 v[6:7], v[4:5]
	s_or_b32 s4, vcc_lo, s4
	s_delay_alu instid0(SALU_CYCLE_1)
	s_and_not1_b32 exec_lo, exec_lo, s4
	s_cbranch_execnz .LBB3_807
.LBB3_808:                              ;   in Loop: Header=BB3_3 Depth=1
	s_or_b32 exec_lo, exec_lo, s6
	v_readfirstlane_b32 s0, v80
	v_mov_b64_e32 v[0:1], 0
	s_delay_alu instid0(VALU_DEP_2)
	v_cmp_eq_u32_e64 s0, s0, v80
	s_and_saveexec_b32 s1, s0
	s_cbranch_execz .LBB3_814
; %bb.809:                              ;   in Loop: Header=BB3_3 Depth=1
	global_load_b64 v[6:7], v53, s[2:3] offset:24 scope:SCOPE_SYS
	s_wait_loadcnt 0x0
	global_inv scope:SCOPE_SYS
	s_clause 0x1
	global_load_b64 v[0:1], v53, s[2:3] offset:40
	global_load_b64 v[4:5], v53, s[2:3]
	s_mov_b32 s4, exec_lo
	s_wait_loadcnt 0x1
	v_and_b32_e32 v0, v0, v6
	v_and_b32_e32 v1, v1, v7
	s_delay_alu instid0(VALU_DEP_1) | instskip(SKIP_1) | instid1(VALU_DEP_1)
	v_mul_u64_e32 v[0:1], 24, v[0:1]
	s_wait_loadcnt 0x0
	v_add_nc_u64_e32 v[0:1], v[4:5], v[0:1]
	global_load_b64 v[4:5], v[0:1], off scope:SCOPE_SYS
	s_wait_xcnt 0x0
	s_wait_loadcnt 0x0
	global_atomic_cmpswap_b64 v[0:1], v53, v[4:7], s[2:3] offset:24 th:TH_ATOMIC_RETURN scope:SCOPE_SYS
	s_wait_loadcnt 0x0
	global_inv scope:SCOPE_SYS
	s_wait_xcnt 0x0
	v_cmpx_ne_u64_e64 v[0:1], v[6:7]
	s_cbranch_execz .LBB3_813
; %bb.810:                              ;   in Loop: Header=BB3_3 Depth=1
	s_mov_b32 s5, 0
.LBB3_811:                              ;   Parent Loop BB3_3 Depth=1
                                        ; =>  This Inner Loop Header: Depth=2
	s_sleep 1
	s_clause 0x1
	global_load_b64 v[4:5], v53, s[2:3] offset:40
	global_load_b64 v[8:9], v53, s[2:3]
	v_mov_b64_e32 v[6:7], v[0:1]
	s_wait_loadcnt 0x1
	s_delay_alu instid0(VALU_DEP_1) | instskip(NEXT) | instid1(VALU_DEP_2)
	v_and_b32_e32 v0, v4, v6
	v_and_b32_e32 v4, v5, v7
	s_wait_loadcnt 0x0
	s_delay_alu instid0(VALU_DEP_2) | instskip(NEXT) | instid1(VALU_DEP_1)
	v_mad_nc_u64_u32 v[0:1], v0, 24, v[8:9]
	v_mad_u32 v1, v4, 24, v1
	global_load_b64 v[4:5], v[0:1], off scope:SCOPE_SYS
	s_wait_xcnt 0x0
	s_wait_loadcnt 0x0
	global_atomic_cmpswap_b64 v[0:1], v53, v[4:7], s[2:3] offset:24 th:TH_ATOMIC_RETURN scope:SCOPE_SYS
	s_wait_loadcnt 0x0
	global_inv scope:SCOPE_SYS
	v_cmp_eq_u64_e32 vcc_lo, v[0:1], v[6:7]
	s_or_b32 s5, vcc_lo, s5
	s_wait_xcnt 0x0
	s_and_not1_b32 exec_lo, exec_lo, s5
	s_cbranch_execnz .LBB3_811
; %bb.812:                              ;   in Loop: Header=BB3_3 Depth=1
	s_or_b32 exec_lo, exec_lo, s5
.LBB3_813:                              ;   in Loop: Header=BB3_3 Depth=1
	s_delay_alu instid0(SALU_CYCLE_1)
	s_or_b32 exec_lo, exec_lo, s4
.LBB3_814:                              ;   in Loop: Header=BB3_3 Depth=1
	s_delay_alu instid0(SALU_CYCLE_1)
	s_or_b32 exec_lo, exec_lo, s1
	s_clause 0x1
	global_load_b64 v[4:5], v53, s[2:3] offset:40
	global_load_b128 v[6:9], v53, s[2:3]
	v_readfirstlane_b32 s4, v0
	v_readfirstlane_b32 s5, v1
	s_mov_b32 s1, exec_lo
	s_wait_loadcnt 0x1
	v_and_b32_e32 v0, s4, v4
	v_and_b32_e32 v1, s5, v5
	s_delay_alu instid0(VALU_DEP_1) | instskip(SKIP_1) | instid1(VALU_DEP_1)
	v_mul_u64_e32 v[4:5], 24, v[0:1]
	s_wait_loadcnt 0x0
	v_add_nc_u64_e32 v[10:11], v[6:7], v[4:5]
	s_wait_xcnt 0x0
	s_and_saveexec_b32 s6, s0
	s_cbranch_execz .LBB3_816
; %bb.815:                              ;   in Loop: Header=BB3_3 Depth=1
	v_mov_b32_e32 v52, s1
	global_store_b128 v[10:11], v[52:55], off offset:8
.LBB3_816:                              ;   in Loop: Header=BB3_3 Depth=1
	s_wait_xcnt 0x0
	s_or_b32 exec_lo, exec_lo, s6
	s_wait_dscnt 0x1
	v_mul_lo_u32 v12, v30, v30
	v_lshlrev_b64_e32 v[4:5], 12, v[0:1]
	s_mov_b32 s17, s16
	s_mov_b32 s18, s16
	;; [unrolled: 1-line block ×3, first 2 shown]
	v_and_or_b32 v2, 0xffffff1f, v2, 32
	s_delay_alu instid0(VALU_DEP_2) | instskip(SKIP_1) | instid1(VALU_DEP_4)
	v_add_nc_u64_e32 v[8:9], v[8:9], v[4:5]
	s_wait_dscnt 0x0
	v_mad_u32 v0, v32, v32, v12
	v_mov_b64_e32 v[12:13], s[16:17]
	v_mov_b64_e32 v[14:15], s[18:19]
	v_mov_b32_e32 v5, v53
	v_readfirstlane_b32 s6, v8
	v_readfirstlane_b32 s7, v9
	v_mov_b32_e32 v4, v0
	s_clause 0x3
	global_store_b128 v22, v[2:5], s[6:7]
	global_store_b128 v22, v[12:15], s[6:7] offset:16
	global_store_b128 v22, v[12:15], s[6:7] offset:32
	;; [unrolled: 1-line block ×3, first 2 shown]
	s_wait_xcnt 0x0
	s_and_saveexec_b32 s1, s0
	s_cbranch_execz .LBB3_824
; %bb.817:                              ;   in Loop: Header=BB3_3 Depth=1
	s_clause 0x1
	global_load_b64 v[14:15], v53, s[2:3] offset:32 scope:SCOPE_SYS
	global_load_b64 v[2:3], v53, s[2:3] offset:40
	s_mov_b32 s6, exec_lo
	v_dual_mov_b32 v12, s4 :: v_dual_mov_b32 v13, s5
	s_wait_loadcnt 0x0
	v_and_b32_e32 v3, s5, v3
	v_and_b32_e32 v2, s4, v2
	s_delay_alu instid0(VALU_DEP_1) | instskip(NEXT) | instid1(VALU_DEP_1)
	v_mul_u64_e32 v[2:3], 24, v[2:3]
	v_add_nc_u64_e32 v[6:7], v[6:7], v[2:3]
	global_store_b64 v[6:7], v[14:15], off
	global_wb scope:SCOPE_SYS
	s_wait_storecnt 0x0
	s_wait_xcnt 0x0
	global_atomic_cmpswap_b64 v[4:5], v53, v[12:15], s[2:3] offset:32 th:TH_ATOMIC_RETURN scope:SCOPE_SYS
	s_wait_loadcnt 0x0
	v_cmpx_ne_u64_e64 v[4:5], v[14:15]
	s_cbranch_execz .LBB3_820
; %bb.818:                              ;   in Loop: Header=BB3_3 Depth=1
	s_mov_b32 s7, 0
.LBB3_819:                              ;   Parent Loop BB3_3 Depth=1
                                        ; =>  This Inner Loop Header: Depth=2
	v_dual_mov_b32 v2, s4 :: v_dual_mov_b32 v3, s5
	s_sleep 1
	global_store_b64 v[6:7], v[4:5], off
	global_wb scope:SCOPE_SYS
	s_wait_storecnt 0x0
	s_wait_xcnt 0x0
	global_atomic_cmpswap_b64 v[2:3], v53, v[2:5], s[2:3] offset:32 th:TH_ATOMIC_RETURN scope:SCOPE_SYS
	s_wait_loadcnt 0x0
	v_cmp_eq_u64_e32 vcc_lo, v[2:3], v[4:5]
	v_mov_b64_e32 v[4:5], v[2:3]
	s_or_b32 s7, vcc_lo, s7
	s_delay_alu instid0(SALU_CYCLE_1)
	s_and_not1_b32 exec_lo, exec_lo, s7
	s_cbranch_execnz .LBB3_819
.LBB3_820:                              ;   in Loop: Header=BB3_3 Depth=1
	s_or_b32 exec_lo, exec_lo, s6
	global_load_b64 v[2:3], v53, s[2:3] offset:16
	s_mov_b32 s7, exec_lo
	s_mov_b32 s6, exec_lo
	v_mbcnt_lo_u32_b32 v1, s7, 0
	s_wait_xcnt 0x0
	s_delay_alu instid0(VALU_DEP_1)
	v_cmpx_eq_u32_e32 0, v1
	s_cbranch_execz .LBB3_822
; %bb.821:                              ;   in Loop: Header=BB3_3 Depth=1
	s_bcnt1_i32_b32 s7, s7
	s_delay_alu instid0(SALU_CYCLE_1)
	v_dual_mov_b32 v5, v53 :: v_dual_mov_b32 v4, s7
	global_wb scope:SCOPE_SYS
	s_wait_loadcnt 0x0
	s_wait_storecnt 0x0
	global_atomic_add_u64 v[2:3], v[4:5], off offset:8 scope:SCOPE_SYS
.LBB3_822:                              ;   in Loop: Header=BB3_3 Depth=1
	s_wait_xcnt 0x0
	s_or_b32 exec_lo, exec_lo, s6
	s_wait_loadcnt 0x0
	global_load_b64 v[4:5], v[2:3], off offset:16
	s_wait_loadcnt 0x0
	v_cmp_eq_u64_e32 vcc_lo, 0, v[4:5]
	s_cbranch_vccnz .LBB3_824
; %bb.823:                              ;   in Loop: Header=BB3_3 Depth=1
	global_load_b32 v2, v[2:3], off offset:24
	s_wait_xcnt 0x0
	v_mov_b32_e32 v3, v53
	s_wait_loadcnt 0x0
	v_readfirstlane_b32 s6, v2
	global_wb scope:SCOPE_SYS
	s_wait_storecnt 0x0
	global_store_b64 v[4:5], v[2:3], off scope:SCOPE_SYS
	s_and_b32 m0, s6, 0xffffff
	s_sendmsg sendmsg(MSG_INTERRUPT)
.LBB3_824:                              ;   in Loop: Header=BB3_3 Depth=1
	s_wait_xcnt 0x0
	s_or_b32 exec_lo, exec_lo, s1
	v_mov_b32_e32 v23, v53
	s_delay_alu instid0(VALU_DEP_1)
	v_add_nc_u64_e32 v[2:3], v[8:9], v[22:23]
	s_branch .LBB3_828
.LBB3_825:                              ;   in Loop: Header=BB3_828 Depth=2
	s_wait_xcnt 0x0
	s_or_b32 exec_lo, exec_lo, s1
	s_delay_alu instid0(VALU_DEP_1)
	v_readfirstlane_b32 s1, v1
	s_cmp_eq_u32 s1, 0
	s_cbranch_scc1 .LBB3_827
; %bb.826:                              ;   in Loop: Header=BB3_828 Depth=2
	s_sleep 1
	s_cbranch_execnz .LBB3_828
	s_branch .LBB3_830
.LBB3_827:                              ;   in Loop: Header=BB3_3 Depth=1
	s_branch .LBB3_830
.LBB3_828:                              ;   Parent Loop BB3_3 Depth=1
                                        ; =>  This Inner Loop Header: Depth=2
	v_mov_b32_e32 v1, 1
	s_and_saveexec_b32 s1, s0
	s_cbranch_execz .LBB3_825
; %bb.829:                              ;   in Loop: Header=BB3_828 Depth=2
	global_load_b32 v1, v[10:11], off offset:20 scope:SCOPE_SYS
	s_wait_loadcnt 0x0
	global_inv scope:SCOPE_SYS
	v_and_b32_e32 v1, 1, v1
	s_branch .LBB3_825
.LBB3_830:                              ;   in Loop: Header=BB3_3 Depth=1
	global_load_b64 v[2:3], v[2:3], off
	s_wait_xcnt 0x0
	s_and_saveexec_b32 s6, s0
	s_cbranch_execz .LBB3_834
; %bb.831:                              ;   in Loop: Header=BB3_3 Depth=1
	s_clause 0x2
	global_load_b64 v[4:5], v53, s[2:3] offset:40
	global_load_b64 v[12:13], v53, s[2:3] offset:24 scope:SCOPE_SYS
	global_load_b64 v[6:7], v53, s[2:3]
	s_wait_loadcnt 0x2
	v_readfirstlane_b32 s8, v4
	v_readfirstlane_b32 s9, v5
	s_add_nc_u64 s[0:1], s[8:9], 1
	s_delay_alu instid0(SALU_CYCLE_1) | instskip(NEXT) | instid1(SALU_CYCLE_1)
	s_add_nc_u64 s[4:5], s[0:1], s[4:5]
	s_cmp_eq_u64 s[4:5], 0
	s_cselect_b32 s1, s1, s5
	s_cselect_b32 s0, s0, s4
	s_delay_alu instid0(SALU_CYCLE_1) | instskip(SKIP_1) | instid1(SALU_CYCLE_1)
	v_dual_mov_b32 v11, s1 :: v_dual_mov_b32 v10, s0
	s_and_b64 s[4:5], s[0:1], s[8:9]
	s_mul_u64 s[4:5], s[4:5], 24
	s_wait_loadcnt 0x0
	v_add_nc_u64_e32 v[8:9], s[4:5], v[6:7]
	global_store_b64 v[8:9], v[12:13], off
	global_wb scope:SCOPE_SYS
	s_wait_storecnt 0x0
	s_wait_xcnt 0x0
	global_atomic_cmpswap_b64 v[6:7], v53, v[10:13], s[2:3] offset:24 th:TH_ATOMIC_RETURN scope:SCOPE_SYS
	s_wait_loadcnt 0x0
	v_cmp_ne_u64_e32 vcc_lo, v[6:7], v[12:13]
	s_and_b32 exec_lo, exec_lo, vcc_lo
	s_cbranch_execz .LBB3_834
; %bb.832:                              ;   in Loop: Header=BB3_3 Depth=1
	s_mov_b32 s4, 0
.LBB3_833:                              ;   Parent Loop BB3_3 Depth=1
                                        ; =>  This Inner Loop Header: Depth=2
	v_dual_mov_b32 v4, s0 :: v_dual_mov_b32 v5, s1
	s_sleep 1
	global_store_b64 v[8:9], v[6:7], off
	global_wb scope:SCOPE_SYS
	s_wait_storecnt 0x0
	s_wait_xcnt 0x0
	global_atomic_cmpswap_b64 v[4:5], v53, v[4:7], s[2:3] offset:24 th:TH_ATOMIC_RETURN scope:SCOPE_SYS
	s_wait_loadcnt 0x0
	v_cmp_eq_u64_e32 vcc_lo, v[4:5], v[6:7]
	v_mov_b64_e32 v[6:7], v[4:5]
	s_or_b32 s4, vcc_lo, s4
	s_delay_alu instid0(SALU_CYCLE_1)
	s_and_not1_b32 exec_lo, exec_lo, s4
	s_cbranch_execnz .LBB3_833
.LBB3_834:                              ;   in Loop: Header=BB3_3 Depth=1
	s_or_b32 exec_lo, exec_lo, s6
	v_readfirstlane_b32 s0, v80
	v_mov_b64_e32 v[4:5], 0
	s_delay_alu instid0(VALU_DEP_2)
	v_cmp_eq_u32_e64 s0, s0, v80
	s_and_saveexec_b32 s1, s0
	s_cbranch_execz .LBB3_840
; %bb.835:                              ;   in Loop: Header=BB3_3 Depth=1
	global_load_b64 v[6:7], v53, s[2:3] offset:24 scope:SCOPE_SYS
	s_wait_loadcnt 0x0
	global_inv scope:SCOPE_SYS
	s_clause 0x1
	global_load_b64 v[4:5], v53, s[2:3] offset:40
	global_load_b64 v[8:9], v53, s[2:3]
	s_mov_b32 s4, exec_lo
	s_wait_loadcnt 0x1
	v_and_b32_e32 v4, v4, v6
	v_and_b32_e32 v5, v5, v7
	s_delay_alu instid0(VALU_DEP_1) | instskip(SKIP_1) | instid1(VALU_DEP_1)
	v_mul_u64_e32 v[4:5], 24, v[4:5]
	s_wait_loadcnt 0x0
	v_add_nc_u64_e32 v[4:5], v[8:9], v[4:5]
	global_load_b64 v[4:5], v[4:5], off scope:SCOPE_SYS
	s_wait_xcnt 0x0
	s_wait_loadcnt 0x0
	global_atomic_cmpswap_b64 v[4:5], v53, v[4:7], s[2:3] offset:24 th:TH_ATOMIC_RETURN scope:SCOPE_SYS
	s_wait_loadcnt 0x0
	global_inv scope:SCOPE_SYS
	s_wait_xcnt 0x0
	v_cmpx_ne_u64_e64 v[4:5], v[6:7]
	s_cbranch_execz .LBB3_839
; %bb.836:                              ;   in Loop: Header=BB3_3 Depth=1
	s_mov_b32 s5, 0
.LBB3_837:                              ;   Parent Loop BB3_3 Depth=1
                                        ; =>  This Inner Loop Header: Depth=2
	s_sleep 1
	s_clause 0x1
	global_load_b64 v[8:9], v53, s[2:3] offset:40
	global_load_b64 v[10:11], v53, s[2:3]
	v_mov_b64_e32 v[6:7], v[4:5]
	s_wait_loadcnt 0x1
	s_delay_alu instid0(VALU_DEP_1) | instskip(SKIP_1) | instid1(VALU_DEP_1)
	v_and_b32_e32 v1, v8, v6
	s_wait_loadcnt 0x0
	v_mad_nc_u64_u32 v[4:5], v1, 24, v[10:11]
	s_delay_alu instid0(VALU_DEP_3) | instskip(NEXT) | instid1(VALU_DEP_1)
	v_and_b32_e32 v1, v9, v7
	v_mad_u32 v5, v1, 24, v5
	global_load_b64 v[4:5], v[4:5], off scope:SCOPE_SYS
	s_wait_xcnt 0x0
	s_wait_loadcnt 0x0
	global_atomic_cmpswap_b64 v[4:5], v53, v[4:7], s[2:3] offset:24 th:TH_ATOMIC_RETURN scope:SCOPE_SYS
	s_wait_loadcnt 0x0
	global_inv scope:SCOPE_SYS
	v_cmp_eq_u64_e32 vcc_lo, v[4:5], v[6:7]
	s_or_b32 s5, vcc_lo, s5
	s_wait_xcnt 0x0
	s_and_not1_b32 exec_lo, exec_lo, s5
	s_cbranch_execnz .LBB3_837
; %bb.838:                              ;   in Loop: Header=BB3_3 Depth=1
	s_or_b32 exec_lo, exec_lo, s5
.LBB3_839:                              ;   in Loop: Header=BB3_3 Depth=1
	s_delay_alu instid0(SALU_CYCLE_1)
	s_or_b32 exec_lo, exec_lo, s4
.LBB3_840:                              ;   in Loop: Header=BB3_3 Depth=1
	s_delay_alu instid0(SALU_CYCLE_1)
	s_or_b32 exec_lo, exec_lo, s1
	s_clause 0x1
	global_load_b64 v[10:11], v53, s[2:3] offset:40
	global_load_b128 v[6:9], v53, s[2:3]
	v_readfirstlane_b32 s4, v4
	v_readfirstlane_b32 s5, v5
	s_mov_b32 s1, exec_lo
	s_wait_loadcnt 0x1
	v_and_b32_e32 v4, s4, v10
	v_and_b32_e32 v5, s5, v11
	s_delay_alu instid0(VALU_DEP_1) | instskip(SKIP_1) | instid1(VALU_DEP_1)
	v_mul_u64_e32 v[10:11], 24, v[4:5]
	s_wait_loadcnt 0x0
	v_add_nc_u64_e32 v[10:11], v[6:7], v[10:11]
	s_wait_xcnt 0x0
	s_and_saveexec_b32 s6, s0
	s_cbranch_execz .LBB3_842
; %bb.841:                              ;   in Loop: Header=BB3_3 Depth=1
	v_mov_b64_e32 v[14:15], v[54:55]
	v_dual_mov_b32 v12, s1 :: v_dual_mov_b32 v13, v53
	global_store_b128 v[10:11], v[12:15], off offset:8
.LBB3_842:                              ;   in Loop: Header=BB3_3 Depth=1
	s_wait_xcnt 0x0
	s_or_b32 exec_lo, exec_lo, s6
	v_lshlrev_b64_e32 v[4:5], 12, v[4:5]
	s_mov_b32 s17, s16
	s_mov_b32 s18, s16
	;; [unrolled: 1-line block ×3, first 2 shown]
	v_mov_b64_e32 v[12:13], s[16:17]
	v_mov_b64_e32 v[14:15], s[18:19]
	v_and_or_b32 v2, 0xffffff1d, v2, 34
	v_add_nc_u64_e32 v[8:9], v[8:9], v[4:5]
	v_dual_mov_b32 v4, v0 :: v_dual_mov_b32 v5, v53
	s_delay_alu instid0(VALU_DEP_2) | instskip(NEXT) | instid1(VALU_DEP_3)
	v_readfirstlane_b32 s6, v8
	v_readfirstlane_b32 s7, v9
	s_clause 0x3
	global_store_b128 v22, v[2:5], s[6:7]
	global_store_b128 v22, v[12:15], s[6:7] offset:16
	global_store_b128 v22, v[12:15], s[6:7] offset:32
	;; [unrolled: 1-line block ×3, first 2 shown]
	s_wait_xcnt 0x0
	s_and_saveexec_b32 s1, s0
	s_cbranch_execz .LBB3_850
; %bb.843:                              ;   in Loop: Header=BB3_3 Depth=1
	s_clause 0x1
	global_load_b64 v[14:15], v53, s[2:3] offset:32 scope:SCOPE_SYS
	global_load_b64 v[0:1], v53, s[2:3] offset:40
	s_mov_b32 s6, exec_lo
	v_dual_mov_b32 v12, s4 :: v_dual_mov_b32 v13, s5
	s_wait_loadcnt 0x0
	v_and_b32_e32 v1, s5, v1
	v_and_b32_e32 v0, s4, v0
	s_delay_alu instid0(VALU_DEP_1) | instskip(NEXT) | instid1(VALU_DEP_1)
	v_mul_u64_e32 v[0:1], 24, v[0:1]
	v_add_nc_u64_e32 v[4:5], v[6:7], v[0:1]
	global_store_b64 v[4:5], v[14:15], off
	global_wb scope:SCOPE_SYS
	s_wait_storecnt 0x0
	s_wait_xcnt 0x0
	global_atomic_cmpswap_b64 v[2:3], v53, v[12:15], s[2:3] offset:32 th:TH_ATOMIC_RETURN scope:SCOPE_SYS
	s_wait_loadcnt 0x0
	v_cmpx_ne_u64_e64 v[2:3], v[14:15]
	s_cbranch_execz .LBB3_846
; %bb.844:                              ;   in Loop: Header=BB3_3 Depth=1
	s_mov_b32 s7, 0
.LBB3_845:                              ;   Parent Loop BB3_3 Depth=1
                                        ; =>  This Inner Loop Header: Depth=2
	v_dual_mov_b32 v0, s4 :: v_dual_mov_b32 v1, s5
	s_sleep 1
	global_store_b64 v[4:5], v[2:3], off
	global_wb scope:SCOPE_SYS
	s_wait_storecnt 0x0
	s_wait_xcnt 0x0
	global_atomic_cmpswap_b64 v[0:1], v53, v[0:3], s[2:3] offset:32 th:TH_ATOMIC_RETURN scope:SCOPE_SYS
	s_wait_loadcnt 0x0
	v_cmp_eq_u64_e32 vcc_lo, v[0:1], v[2:3]
	v_mov_b64_e32 v[2:3], v[0:1]
	s_or_b32 s7, vcc_lo, s7
	s_delay_alu instid0(SALU_CYCLE_1)
	s_and_not1_b32 exec_lo, exec_lo, s7
	s_cbranch_execnz .LBB3_845
.LBB3_846:                              ;   in Loop: Header=BB3_3 Depth=1
	s_or_b32 exec_lo, exec_lo, s6
	global_load_b64 v[0:1], v53, s[2:3] offset:16
	s_mov_b32 s7, exec_lo
	s_mov_b32 s6, exec_lo
	v_mbcnt_lo_u32_b32 v2, s7, 0
	s_wait_xcnt 0x0
	s_delay_alu instid0(VALU_DEP_1)
	v_cmpx_eq_u32_e32 0, v2
	s_cbranch_execz .LBB3_848
; %bb.847:                              ;   in Loop: Header=BB3_3 Depth=1
	s_bcnt1_i32_b32 s7, s7
	s_delay_alu instid0(SALU_CYCLE_1)
	v_mov_b32_e32 v52, s7
	global_wb scope:SCOPE_SYS
	s_wait_loadcnt 0x0
	s_wait_storecnt 0x0
	global_atomic_add_u64 v[0:1], v[52:53], off offset:8 scope:SCOPE_SYS
.LBB3_848:                              ;   in Loop: Header=BB3_3 Depth=1
	s_wait_xcnt 0x0
	s_or_b32 exec_lo, exec_lo, s6
	s_wait_loadcnt 0x0
	global_load_b64 v[2:3], v[0:1], off offset:16
	s_wait_loadcnt 0x0
	v_cmp_eq_u64_e32 vcc_lo, 0, v[2:3]
	s_cbranch_vccnz .LBB3_850
; %bb.849:                              ;   in Loop: Header=BB3_3 Depth=1
	global_load_b32 v52, v[0:1], off offset:24
	s_wait_loadcnt 0x0
	v_readfirstlane_b32 s6, v52
	global_wb scope:SCOPE_SYS
	s_wait_storecnt 0x0
	s_wait_xcnt 0x0
	global_store_b64 v[2:3], v[52:53], off scope:SCOPE_SYS
	s_and_b32 m0, s6, 0xffffff
	s_sendmsg sendmsg(MSG_INTERRUPT)
.LBB3_850:                              ;   in Loop: Header=BB3_3 Depth=1
	s_wait_xcnt 0x0
	s_or_b32 exec_lo, exec_lo, s1
	v_mov_b32_e32 v23, v53
	s_delay_alu instid0(VALU_DEP_1)
	v_add_nc_u64_e32 v[0:1], v[8:9], v[22:23]
	s_branch .LBB3_854
.LBB3_851:                              ;   in Loop: Header=BB3_854 Depth=2
	s_wait_xcnt 0x0
	s_or_b32 exec_lo, exec_lo, s1
	s_delay_alu instid0(VALU_DEP_1)
	v_readfirstlane_b32 s1, v2
	s_cmp_eq_u32 s1, 0
	s_cbranch_scc1 .LBB3_853
; %bb.852:                              ;   in Loop: Header=BB3_854 Depth=2
	s_sleep 1
	s_cbranch_execnz .LBB3_854
	s_branch .LBB3_856
.LBB3_853:                              ;   in Loop: Header=BB3_3 Depth=1
	s_branch .LBB3_856
.LBB3_854:                              ;   Parent Loop BB3_3 Depth=1
                                        ; =>  This Inner Loop Header: Depth=2
	v_mov_b32_e32 v2, 1
	s_and_saveexec_b32 s1, s0
	s_cbranch_execz .LBB3_851
; %bb.855:                              ;   in Loop: Header=BB3_854 Depth=2
	global_load_b32 v2, v[10:11], off offset:20 scope:SCOPE_SYS
	s_wait_loadcnt 0x0
	global_inv scope:SCOPE_SYS
	v_and_b32_e32 v2, 1, v2
	s_branch .LBB3_851
.LBB3_856:                              ;   in Loop: Header=BB3_3 Depth=1
	global_load_b64 v[0:1], v[0:1], off
	s_wait_xcnt 0x0
	s_and_saveexec_b32 s6, s0
	s_cbranch_execz .LBB3_860
; %bb.857:                              ;   in Loop: Header=BB3_3 Depth=1
	s_clause 0x2
	global_load_b64 v[2:3], v53, s[2:3] offset:40
	global_load_b64 v[10:11], v53, s[2:3] offset:24 scope:SCOPE_SYS
	global_load_b64 v[4:5], v53, s[2:3]
	s_wait_loadcnt 0x2
	v_readfirstlane_b32 s8, v2
	v_readfirstlane_b32 s9, v3
	s_add_nc_u64 s[0:1], s[8:9], 1
	s_delay_alu instid0(SALU_CYCLE_1) | instskip(NEXT) | instid1(SALU_CYCLE_1)
	s_add_nc_u64 s[4:5], s[0:1], s[4:5]
	s_cmp_eq_u64 s[4:5], 0
	s_cselect_b32 s1, s1, s5
	s_cselect_b32 s0, s0, s4
	s_delay_alu instid0(SALU_CYCLE_1) | instskip(SKIP_1) | instid1(SALU_CYCLE_1)
	v_dual_mov_b32 v9, s1 :: v_dual_mov_b32 v8, s0
	s_and_b64 s[4:5], s[0:1], s[8:9]
	s_mul_u64 s[4:5], s[4:5], 24
	s_wait_loadcnt 0x0
	v_add_nc_u64_e32 v[6:7], s[4:5], v[4:5]
	global_store_b64 v[6:7], v[10:11], off
	global_wb scope:SCOPE_SYS
	s_wait_storecnt 0x0
	s_wait_xcnt 0x0
	global_atomic_cmpswap_b64 v[4:5], v53, v[8:11], s[2:3] offset:24 th:TH_ATOMIC_RETURN scope:SCOPE_SYS
	s_wait_loadcnt 0x0
	v_cmp_ne_u64_e32 vcc_lo, v[4:5], v[10:11]
	s_and_b32 exec_lo, exec_lo, vcc_lo
	s_cbranch_execz .LBB3_860
; %bb.858:                              ;   in Loop: Header=BB3_3 Depth=1
	s_mov_b32 s4, 0
.LBB3_859:                              ;   Parent Loop BB3_3 Depth=1
                                        ; =>  This Inner Loop Header: Depth=2
	v_dual_mov_b32 v2, s0 :: v_dual_mov_b32 v3, s1
	s_sleep 1
	global_store_b64 v[6:7], v[4:5], off
	global_wb scope:SCOPE_SYS
	s_wait_storecnt 0x0
	s_wait_xcnt 0x0
	global_atomic_cmpswap_b64 v[2:3], v53, v[2:5], s[2:3] offset:24 th:TH_ATOMIC_RETURN scope:SCOPE_SYS
	s_wait_loadcnt 0x0
	v_cmp_eq_u64_e32 vcc_lo, v[2:3], v[4:5]
	v_mov_b64_e32 v[4:5], v[2:3]
	s_or_b32 s4, vcc_lo, s4
	s_delay_alu instid0(SALU_CYCLE_1)
	s_and_not1_b32 exec_lo, exec_lo, s4
	s_cbranch_execnz .LBB3_859
.LBB3_860:                              ;   in Loop: Header=BB3_3 Depth=1
	s_or_b32 exec_lo, exec_lo, s6
                                        ; implicit-def: $vgpr30
.LBB3_861:                              ;   in Loop: Header=BB3_3 Depth=1
	s_and_not1_saveexec_b32 s56, s56
	s_cbranch_execz .LBB3_884
; %bb.862:                              ;   in Loop: Header=BB3_3 Depth=1
	flat_load_b32 v32, v[70:71]
	s_load_b64 s[2:3], s[14:15], 0x50
	v_readfirstlane_b32 s0, v80
	v_mov_b64_e32 v[4:5], 0
	s_delay_alu instid0(VALU_DEP_2)
	v_cmp_eq_u32_e64 s0, s0, v80
	s_and_saveexec_b32 s1, s0
	s_cbranch_execz .LBB3_868
; %bb.863:                              ;   in Loop: Header=BB3_3 Depth=1
	s_wait_kmcnt 0x0
	global_load_b64 v[2:3], v53, s[2:3] offset:24 scope:SCOPE_SYS
	s_wait_loadcnt 0x0
	global_inv scope:SCOPE_SYS
	s_clause 0x1
	global_load_b64 v[0:1], v53, s[2:3] offset:40
	global_load_b64 v[4:5], v53, s[2:3]
	s_mov_b32 s4, exec_lo
	s_wait_loadcnt 0x1
	v_and_b32_e32 v0, v0, v2
	v_and_b32_e32 v1, v1, v3
	s_delay_alu instid0(VALU_DEP_1) | instskip(SKIP_1) | instid1(VALU_DEP_1)
	v_mul_u64_e32 v[0:1], 24, v[0:1]
	s_wait_loadcnt 0x0
	v_add_nc_u64_e32 v[0:1], v[4:5], v[0:1]
	global_load_b64 v[0:1], v[0:1], off scope:SCOPE_SYS
	s_wait_xcnt 0x0
	s_wait_loadcnt 0x0
	global_atomic_cmpswap_b64 v[4:5], v53, v[0:3], s[2:3] offset:24 th:TH_ATOMIC_RETURN scope:SCOPE_SYS
	s_wait_loadcnt 0x0
	global_inv scope:SCOPE_SYS
	s_wait_xcnt 0x0
	v_cmpx_ne_u64_e64 v[4:5], v[2:3]
	s_cbranch_execz .LBB3_867
; %bb.864:                              ;   in Loop: Header=BB3_3 Depth=1
	s_mov_b32 s5, 0
.LBB3_865:                              ;   Parent Loop BB3_3 Depth=1
                                        ; =>  This Inner Loop Header: Depth=2
	s_sleep 1
	s_clause 0x1
	global_load_b64 v[0:1], v53, s[2:3] offset:40
	global_load_b64 v[6:7], v53, s[2:3]
	v_mov_b64_e32 v[2:3], v[4:5]
	s_wait_loadcnt 0x1
	s_delay_alu instid0(VALU_DEP_1) | instskip(SKIP_1) | instid1(VALU_DEP_1)
	v_and_b32_e32 v0, v0, v2
	s_wait_loadcnt 0x0
	v_mad_nc_u64_u32 v[4:5], v0, 24, v[6:7]
	s_delay_alu instid0(VALU_DEP_3) | instskip(NEXT) | instid1(VALU_DEP_1)
	v_and_b32_e32 v0, v1, v3
	v_mad_u32 v5, v0, 24, v5
	global_load_b64 v[0:1], v[4:5], off scope:SCOPE_SYS
	s_wait_xcnt 0x0
	s_wait_loadcnt 0x0
	global_atomic_cmpswap_b64 v[4:5], v53, v[0:3], s[2:3] offset:24 th:TH_ATOMIC_RETURN scope:SCOPE_SYS
	s_wait_loadcnt 0x0
	global_inv scope:SCOPE_SYS
	v_cmp_eq_u64_e32 vcc_lo, v[4:5], v[2:3]
	s_or_b32 s5, vcc_lo, s5
	s_wait_xcnt 0x0
	s_and_not1_b32 exec_lo, exec_lo, s5
	s_cbranch_execnz .LBB3_865
; %bb.866:                              ;   in Loop: Header=BB3_3 Depth=1
	s_or_b32 exec_lo, exec_lo, s5
.LBB3_867:                              ;   in Loop: Header=BB3_3 Depth=1
	s_delay_alu instid0(SALU_CYCLE_1)
	s_or_b32 exec_lo, exec_lo, s4
.LBB3_868:                              ;   in Loop: Header=BB3_3 Depth=1
	s_delay_alu instid0(SALU_CYCLE_1)
	s_or_b32 exec_lo, exec_lo, s1
	s_wait_kmcnt 0x0
	global_load_b64 v[6:7], v53, s[2:3] offset:40
	s_wait_loadcnt 0x2
	global_load_b128 v[0:3], v53, s[2:3]
	v_readfirstlane_b32 s4, v4
	v_readfirstlane_b32 s5, v5
	s_mov_b32 s1, exec_lo
	s_wait_loadcnt 0x1
	v_and_b32_e32 v6, s4, v6
	v_and_b32_e32 v7, s5, v7
	s_delay_alu instid0(VALU_DEP_1) | instskip(SKIP_1) | instid1(VALU_DEP_1)
	v_mul_u64_e32 v[4:5], 24, v[6:7]
	s_wait_loadcnt 0x0
	v_add_nc_u64_e32 v[4:5], v[0:1], v[4:5]
	s_wait_xcnt 0x0
	s_and_saveexec_b32 s6, s0
	s_cbranch_execz .LBB3_870
; %bb.869:                              ;   in Loop: Header=BB3_3 Depth=1
	v_mov_b32_e32 v52, s1
	global_store_b128 v[4:5], v[52:55], off offset:8
.LBB3_870:                              ;   in Loop: Header=BB3_3 Depth=1
	s_wait_xcnt 0x0
	s_or_b32 exec_lo, exec_lo, s6
	v_lshlrev_b64_e32 v[6:7], 12, v[6:7]
	s_mov_b32 s17, s16
	s_mov_b32 s18, s16
	;; [unrolled: 1-line block ×3, first 2 shown]
	v_mov_b64_e32 v[8:9], s[16:17]
	v_mov_b64_e32 v[10:11], s[18:19]
	v_dual_mov_b32 v65, v53 :: v_dual_lshlrev_b32 v22, 6, v80
	v_add_nc_u64_e32 v[6:7], v[2:3], v[6:7]
	v_dual_mov_b32 v66, v53 :: v_dual_mov_b32 v67, v53
	s_delay_alu instid0(VALU_DEP_2) | instskip(NEXT) | instid1(VALU_DEP_3)
	v_readfirstlane_b32 s6, v6
	v_readfirstlane_b32 s7, v7
	s_clause 0x3
	global_store_b128 v22, v[64:67], s[6:7]
	global_store_b128 v22, v[8:11], s[6:7] offset:16
	global_store_b128 v22, v[8:11], s[6:7] offset:32
	;; [unrolled: 1-line block ×3, first 2 shown]
	s_wait_xcnt 0x0
	s_and_saveexec_b32 s1, s0
	s_cbranch_execz .LBB3_878
; %bb.871:                              ;   in Loop: Header=BB3_3 Depth=1
	s_clause 0x1
	global_load_b64 v[12:13], v53, s[2:3] offset:32 scope:SCOPE_SYS
	global_load_b64 v[2:3], v53, s[2:3] offset:40
	s_mov_b32 s6, exec_lo
	v_dual_mov_b32 v10, s4 :: v_dual_mov_b32 v11, s5
	s_wait_loadcnt 0x0
	v_and_b32_e32 v3, s5, v3
	v_and_b32_e32 v2, s4, v2
	s_delay_alu instid0(VALU_DEP_1) | instskip(NEXT) | instid1(VALU_DEP_1)
	v_mul_u64_e32 v[2:3], 24, v[2:3]
	v_add_nc_u64_e32 v[8:9], v[0:1], v[2:3]
	global_store_b64 v[8:9], v[12:13], off
	global_wb scope:SCOPE_SYS
	s_wait_storecnt 0x0
	s_wait_xcnt 0x0
	global_atomic_cmpswap_b64 v[2:3], v53, v[10:13], s[2:3] offset:32 th:TH_ATOMIC_RETURN scope:SCOPE_SYS
	s_wait_loadcnt 0x0
	v_cmpx_ne_u64_e64 v[2:3], v[12:13]
	s_cbranch_execz .LBB3_874
; %bb.872:                              ;   in Loop: Header=BB3_3 Depth=1
	s_mov_b32 s7, 0
.LBB3_873:                              ;   Parent Loop BB3_3 Depth=1
                                        ; =>  This Inner Loop Header: Depth=2
	v_dual_mov_b32 v0, s4 :: v_dual_mov_b32 v1, s5
	s_sleep 1
	global_store_b64 v[8:9], v[2:3], off
	global_wb scope:SCOPE_SYS
	s_wait_storecnt 0x0
	s_wait_xcnt 0x0
	global_atomic_cmpswap_b64 v[0:1], v53, v[0:3], s[2:3] offset:32 th:TH_ATOMIC_RETURN scope:SCOPE_SYS
	s_wait_loadcnt 0x0
	v_cmp_eq_u64_e32 vcc_lo, v[0:1], v[2:3]
	v_mov_b64_e32 v[2:3], v[0:1]
	s_or_b32 s7, vcc_lo, s7
	s_delay_alu instid0(SALU_CYCLE_1)
	s_and_not1_b32 exec_lo, exec_lo, s7
	s_cbranch_execnz .LBB3_873
.LBB3_874:                              ;   in Loop: Header=BB3_3 Depth=1
	s_or_b32 exec_lo, exec_lo, s6
	global_load_b64 v[0:1], v53, s[2:3] offset:16
	s_mov_b32 s7, exec_lo
	s_mov_b32 s6, exec_lo
	v_mbcnt_lo_u32_b32 v2, s7, 0
	s_wait_xcnt 0x0
	s_delay_alu instid0(VALU_DEP_1)
	v_cmpx_eq_u32_e32 0, v2
	s_cbranch_execz .LBB3_876
; %bb.875:                              ;   in Loop: Header=BB3_3 Depth=1
	s_bcnt1_i32_b32 s7, s7
	s_delay_alu instid0(SALU_CYCLE_1)
	v_mov_b32_e32 v52, s7
	global_wb scope:SCOPE_SYS
	s_wait_loadcnt 0x0
	s_wait_storecnt 0x0
	global_atomic_add_u64 v[0:1], v[52:53], off offset:8 scope:SCOPE_SYS
.LBB3_876:                              ;   in Loop: Header=BB3_3 Depth=1
	s_wait_xcnt 0x0
	s_or_b32 exec_lo, exec_lo, s6
	s_wait_loadcnt 0x0
	global_load_b64 v[2:3], v[0:1], off offset:16
	s_wait_loadcnt 0x0
	v_cmp_eq_u64_e32 vcc_lo, 0, v[2:3]
	s_cbranch_vccnz .LBB3_878
; %bb.877:                              ;   in Loop: Header=BB3_3 Depth=1
	global_load_b32 v52, v[0:1], off offset:24
	s_wait_loadcnt 0x0
	v_readfirstlane_b32 s6, v52
	global_wb scope:SCOPE_SYS
	s_wait_storecnt 0x0
	s_wait_xcnt 0x0
	global_store_b64 v[2:3], v[52:53], off scope:SCOPE_SYS
	s_and_b32 m0, s6, 0xffffff
	s_sendmsg sendmsg(MSG_INTERRUPT)
.LBB3_878:                              ;   in Loop: Header=BB3_3 Depth=1
	s_wait_xcnt 0x0
	s_or_b32 exec_lo, exec_lo, s1
	v_mov_b32_e32 v23, v53
	s_delay_alu instid0(VALU_DEP_1)
	v_add_nc_u64_e32 v[0:1], v[6:7], v[22:23]
	s_branch .LBB3_882
.LBB3_879:                              ;   in Loop: Header=BB3_882 Depth=2
	s_wait_xcnt 0x0
	s_or_b32 exec_lo, exec_lo, s1
	s_delay_alu instid0(VALU_DEP_1)
	v_readfirstlane_b32 s1, v2
	s_cmp_eq_u32 s1, 0
	s_cbranch_scc1 .LBB3_881
; %bb.880:                              ;   in Loop: Header=BB3_882 Depth=2
	s_sleep 1
	s_cbranch_execnz .LBB3_882
	s_branch .LBB3_909
.LBB3_881:                              ;   in Loop: Header=BB3_3 Depth=1
	s_branch .LBB3_909
.LBB3_882:                              ;   Parent Loop BB3_3 Depth=1
                                        ; =>  This Inner Loop Header: Depth=2
	v_mov_b32_e32 v2, 1
	s_and_saveexec_b32 s1, s0
	s_cbranch_execz .LBB3_879
; %bb.883:                              ;   in Loop: Header=BB3_882 Depth=2
	global_load_b32 v2, v[4:5], off offset:20 scope:SCOPE_SYS
	s_wait_loadcnt 0x0
	global_inv scope:SCOPE_SYS
	v_and_b32_e32 v2, 1, v2
	s_branch .LBB3_879
.LBB3_884:                              ;   in Loop: Header=BB3_3 Depth=1
	s_or_b32 exec_lo, exec_lo, s56
                                        ; implicit-def: $vgpr30
.LBB3_885:                              ;   in Loop: Header=BB3_3 Depth=1
	s_and_not1_saveexec_b32 s47, s47
	s_cbranch_execz .LBB3_1503
.LBB3_886:                              ;   in Loop: Header=BB3_3 Depth=1
                                        ; implicit-def: $vgpr0_vgpr1
	s_mov_b32 s0, exec_lo
	v_cmpx_ne_u32_e32 1, v39
	s_xor_b32 s56, exec_lo, s0
	s_cbranch_execz .LBB3_1289
; %bb.887:                              ;   in Loop: Header=BB3_3 Depth=1
	flat_load_b32 v32, v[70:71]
	s_load_b64 s[2:3], s[14:15], 0x50
	v_readfirstlane_b32 s0, v80
	v_mov_b64_e32 v[4:5], 0
	s_delay_alu instid0(VALU_DEP_2)
	v_cmp_eq_u32_e64 s0, s0, v80
	s_and_saveexec_b32 s1, s0
	s_cbranch_execz .LBB3_893
; %bb.888:                              ;   in Loop: Header=BB3_3 Depth=1
	s_wait_kmcnt 0x0
	global_load_b64 v[2:3], v53, s[2:3] offset:24 scope:SCOPE_SYS
	s_wait_loadcnt 0x0
	global_inv scope:SCOPE_SYS
	s_clause 0x1
	global_load_b64 v[0:1], v53, s[2:3] offset:40
	global_load_b64 v[4:5], v53, s[2:3]
	s_mov_b32 s4, exec_lo
	s_wait_loadcnt 0x1
	v_and_b32_e32 v0, v0, v2
	v_and_b32_e32 v1, v1, v3
	s_delay_alu instid0(VALU_DEP_1) | instskip(SKIP_1) | instid1(VALU_DEP_1)
	v_mul_u64_e32 v[0:1], 24, v[0:1]
	s_wait_loadcnt 0x0
	v_add_nc_u64_e32 v[0:1], v[4:5], v[0:1]
	global_load_b64 v[0:1], v[0:1], off scope:SCOPE_SYS
	s_wait_xcnt 0x0
	s_wait_loadcnt 0x0
	global_atomic_cmpswap_b64 v[4:5], v53, v[0:3], s[2:3] offset:24 th:TH_ATOMIC_RETURN scope:SCOPE_SYS
	s_wait_loadcnt 0x0
	global_inv scope:SCOPE_SYS
	s_wait_xcnt 0x0
	v_cmpx_ne_u64_e64 v[4:5], v[2:3]
	s_cbranch_execz .LBB3_892
; %bb.889:                              ;   in Loop: Header=BB3_3 Depth=1
	s_mov_b32 s5, 0
.LBB3_890:                              ;   Parent Loop BB3_3 Depth=1
                                        ; =>  This Inner Loop Header: Depth=2
	s_sleep 1
	s_clause 0x1
	global_load_b64 v[0:1], v53, s[2:3] offset:40
	global_load_b64 v[6:7], v53, s[2:3]
	v_mov_b64_e32 v[2:3], v[4:5]
	s_wait_loadcnt 0x1
	s_delay_alu instid0(VALU_DEP_1) | instskip(SKIP_1) | instid1(VALU_DEP_1)
	v_and_b32_e32 v0, v0, v2
	s_wait_loadcnt 0x0
	v_mad_nc_u64_u32 v[4:5], v0, 24, v[6:7]
	s_delay_alu instid0(VALU_DEP_3) | instskip(NEXT) | instid1(VALU_DEP_1)
	v_and_b32_e32 v0, v1, v3
	v_mad_u32 v5, v0, 24, v5
	global_load_b64 v[0:1], v[4:5], off scope:SCOPE_SYS
	s_wait_xcnt 0x0
	s_wait_loadcnt 0x0
	global_atomic_cmpswap_b64 v[4:5], v53, v[0:3], s[2:3] offset:24 th:TH_ATOMIC_RETURN scope:SCOPE_SYS
	s_wait_loadcnt 0x0
	global_inv scope:SCOPE_SYS
	v_cmp_eq_u64_e32 vcc_lo, v[4:5], v[2:3]
	s_or_b32 s5, vcc_lo, s5
	s_wait_xcnt 0x0
	s_and_not1_b32 exec_lo, exec_lo, s5
	s_cbranch_execnz .LBB3_890
; %bb.891:                              ;   in Loop: Header=BB3_3 Depth=1
	s_or_b32 exec_lo, exec_lo, s5
.LBB3_892:                              ;   in Loop: Header=BB3_3 Depth=1
	s_delay_alu instid0(SALU_CYCLE_1)
	s_or_b32 exec_lo, exec_lo, s4
.LBB3_893:                              ;   in Loop: Header=BB3_3 Depth=1
	s_delay_alu instid0(SALU_CYCLE_1)
	s_or_b32 exec_lo, exec_lo, s1
	s_wait_kmcnt 0x0
	global_load_b64 v[6:7], v53, s[2:3] offset:40
	s_wait_loadcnt 0x2
	global_load_b128 v[0:3], v53, s[2:3]
	v_readfirstlane_b32 s4, v4
	v_readfirstlane_b32 s5, v5
	s_mov_b32 s1, exec_lo
	s_wait_loadcnt 0x1
	v_and_b32_e32 v6, s4, v6
	v_and_b32_e32 v7, s5, v7
	s_delay_alu instid0(VALU_DEP_1) | instskip(SKIP_1) | instid1(VALU_DEP_1)
	v_mul_u64_e32 v[4:5], 24, v[6:7]
	s_wait_loadcnt 0x0
	v_add_nc_u64_e32 v[4:5], v[0:1], v[4:5]
	s_wait_xcnt 0x0
	s_and_saveexec_b32 s6, s0
	s_cbranch_execz .LBB3_895
; %bb.894:                              ;   in Loop: Header=BB3_3 Depth=1
	v_mov_b32_e32 v52, s1
	global_store_b128 v[4:5], v[52:55], off offset:8
.LBB3_895:                              ;   in Loop: Header=BB3_3 Depth=1
	s_wait_xcnt 0x0
	s_or_b32 exec_lo, exec_lo, s6
	v_lshlrev_b64_e32 v[6:7], 12, v[6:7]
	s_mov_b32 s17, s16
	s_mov_b32 s18, s16
	;; [unrolled: 1-line block ×3, first 2 shown]
	v_mov_b64_e32 v[8:9], s[16:17]
	v_mov_b64_e32 v[10:11], s[18:19]
	v_dual_mov_b32 v65, v53 :: v_dual_lshlrev_b32 v22, 6, v80
	v_add_nc_u64_e32 v[6:7], v[2:3], v[6:7]
	v_dual_mov_b32 v66, v53 :: v_dual_mov_b32 v67, v53
	s_delay_alu instid0(VALU_DEP_2) | instskip(NEXT) | instid1(VALU_DEP_3)
	v_readfirstlane_b32 s6, v6
	v_readfirstlane_b32 s7, v7
	s_clause 0x3
	global_store_b128 v22, v[64:67], s[6:7]
	global_store_b128 v22, v[8:11], s[6:7] offset:16
	global_store_b128 v22, v[8:11], s[6:7] offset:32
	;; [unrolled: 1-line block ×3, first 2 shown]
	s_wait_xcnt 0x0
	s_and_saveexec_b32 s1, s0
	s_cbranch_execz .LBB3_903
; %bb.896:                              ;   in Loop: Header=BB3_3 Depth=1
	s_clause 0x1
	global_load_b64 v[12:13], v53, s[2:3] offset:32 scope:SCOPE_SYS
	global_load_b64 v[2:3], v53, s[2:3] offset:40
	s_mov_b32 s6, exec_lo
	v_dual_mov_b32 v10, s4 :: v_dual_mov_b32 v11, s5
	s_wait_loadcnt 0x0
	v_and_b32_e32 v3, s5, v3
	v_and_b32_e32 v2, s4, v2
	s_delay_alu instid0(VALU_DEP_1) | instskip(NEXT) | instid1(VALU_DEP_1)
	v_mul_u64_e32 v[2:3], 24, v[2:3]
	v_add_nc_u64_e32 v[8:9], v[0:1], v[2:3]
	global_store_b64 v[8:9], v[12:13], off
	global_wb scope:SCOPE_SYS
	s_wait_storecnt 0x0
	s_wait_xcnt 0x0
	global_atomic_cmpswap_b64 v[2:3], v53, v[10:13], s[2:3] offset:32 th:TH_ATOMIC_RETURN scope:SCOPE_SYS
	s_wait_loadcnt 0x0
	v_cmpx_ne_u64_e64 v[2:3], v[12:13]
	s_cbranch_execz .LBB3_899
; %bb.897:                              ;   in Loop: Header=BB3_3 Depth=1
	s_mov_b32 s7, 0
.LBB3_898:                              ;   Parent Loop BB3_3 Depth=1
                                        ; =>  This Inner Loop Header: Depth=2
	v_dual_mov_b32 v0, s4 :: v_dual_mov_b32 v1, s5
	s_sleep 1
	global_store_b64 v[8:9], v[2:3], off
	global_wb scope:SCOPE_SYS
	s_wait_storecnt 0x0
	s_wait_xcnt 0x0
	global_atomic_cmpswap_b64 v[0:1], v53, v[0:3], s[2:3] offset:32 th:TH_ATOMIC_RETURN scope:SCOPE_SYS
	s_wait_loadcnt 0x0
	v_cmp_eq_u64_e32 vcc_lo, v[0:1], v[2:3]
	v_mov_b64_e32 v[2:3], v[0:1]
	s_or_b32 s7, vcc_lo, s7
	s_delay_alu instid0(SALU_CYCLE_1)
	s_and_not1_b32 exec_lo, exec_lo, s7
	s_cbranch_execnz .LBB3_898
.LBB3_899:                              ;   in Loop: Header=BB3_3 Depth=1
	s_or_b32 exec_lo, exec_lo, s6
	global_load_b64 v[0:1], v53, s[2:3] offset:16
	s_mov_b32 s7, exec_lo
	s_mov_b32 s6, exec_lo
	v_mbcnt_lo_u32_b32 v2, s7, 0
	s_wait_xcnt 0x0
	s_delay_alu instid0(VALU_DEP_1)
	v_cmpx_eq_u32_e32 0, v2
	s_cbranch_execz .LBB3_901
; %bb.900:                              ;   in Loop: Header=BB3_3 Depth=1
	s_bcnt1_i32_b32 s7, s7
	s_delay_alu instid0(SALU_CYCLE_1)
	v_mov_b32_e32 v52, s7
	global_wb scope:SCOPE_SYS
	s_wait_loadcnt 0x0
	s_wait_storecnt 0x0
	global_atomic_add_u64 v[0:1], v[52:53], off offset:8 scope:SCOPE_SYS
.LBB3_901:                              ;   in Loop: Header=BB3_3 Depth=1
	s_wait_xcnt 0x0
	s_or_b32 exec_lo, exec_lo, s6
	s_wait_loadcnt 0x0
	global_load_b64 v[2:3], v[0:1], off offset:16
	s_wait_loadcnt 0x0
	v_cmp_eq_u64_e32 vcc_lo, 0, v[2:3]
	s_cbranch_vccnz .LBB3_903
; %bb.902:                              ;   in Loop: Header=BB3_3 Depth=1
	global_load_b32 v52, v[0:1], off offset:24
	s_wait_loadcnt 0x0
	v_readfirstlane_b32 s6, v52
	global_wb scope:SCOPE_SYS
	s_wait_storecnt 0x0
	s_wait_xcnt 0x0
	global_store_b64 v[2:3], v[52:53], off scope:SCOPE_SYS
	s_and_b32 m0, s6, 0xffffff
	s_sendmsg sendmsg(MSG_INTERRUPT)
.LBB3_903:                              ;   in Loop: Header=BB3_3 Depth=1
	s_wait_xcnt 0x0
	s_or_b32 exec_lo, exec_lo, s1
	v_mov_b32_e32 v23, v53
	s_delay_alu instid0(VALU_DEP_1)
	v_add_nc_u64_e32 v[0:1], v[6:7], v[22:23]
	s_branch .LBB3_907
.LBB3_904:                              ;   in Loop: Header=BB3_907 Depth=2
	s_wait_xcnt 0x0
	s_or_b32 exec_lo, exec_lo, s1
	s_delay_alu instid0(VALU_DEP_1)
	v_readfirstlane_b32 s1, v2
	s_cmp_eq_u32 s1, 0
	s_cbranch_scc1 .LBB3_906
; %bb.905:                              ;   in Loop: Header=BB3_907 Depth=2
	s_sleep 1
	s_cbranch_execnz .LBB3_907
	s_branch .LBB3_991
.LBB3_906:                              ;   in Loop: Header=BB3_3 Depth=1
	s_branch .LBB3_991
.LBB3_907:                              ;   Parent Loop BB3_3 Depth=1
                                        ; =>  This Inner Loop Header: Depth=2
	v_mov_b32_e32 v2, 1
	s_and_saveexec_b32 s1, s0
	s_cbranch_execz .LBB3_904
; %bb.908:                              ;   in Loop: Header=BB3_907 Depth=2
	global_load_b32 v2, v[4:5], off offset:20 scope:SCOPE_SYS
	s_wait_loadcnt 0x0
	global_inv scope:SCOPE_SYS
	v_and_b32_e32 v2, 1, v2
	s_branch .LBB3_904
.LBB3_909:                              ;   in Loop: Header=BB3_3 Depth=1
	global_load_b64 v[0:1], v[0:1], off
	s_wait_xcnt 0x0
	s_and_saveexec_b32 s6, s0
	s_cbranch_execz .LBB3_913
; %bb.910:                              ;   in Loop: Header=BB3_3 Depth=1
	s_clause 0x2
	global_load_b64 v[2:3], v53, s[2:3] offset:40
	global_load_b64 v[10:11], v53, s[2:3] offset:24 scope:SCOPE_SYS
	global_load_b64 v[4:5], v53, s[2:3]
	s_wait_loadcnt 0x2
	v_readfirstlane_b32 s8, v2
	v_readfirstlane_b32 s9, v3
	s_add_nc_u64 s[0:1], s[8:9], 1
	s_delay_alu instid0(SALU_CYCLE_1) | instskip(NEXT) | instid1(SALU_CYCLE_1)
	s_add_nc_u64 s[4:5], s[0:1], s[4:5]
	s_cmp_eq_u64 s[4:5], 0
	s_cselect_b32 s1, s1, s5
	s_cselect_b32 s0, s0, s4
	s_delay_alu instid0(SALU_CYCLE_1) | instskip(SKIP_1) | instid1(SALU_CYCLE_1)
	v_dual_mov_b32 v9, s1 :: v_dual_mov_b32 v8, s0
	s_and_b64 s[4:5], s[0:1], s[8:9]
	s_mul_u64 s[4:5], s[4:5], 24
	s_wait_loadcnt 0x0
	v_add_nc_u64_e32 v[6:7], s[4:5], v[4:5]
	global_store_b64 v[6:7], v[10:11], off
	global_wb scope:SCOPE_SYS
	s_wait_storecnt 0x0
	s_wait_xcnt 0x0
	global_atomic_cmpswap_b64 v[4:5], v53, v[8:11], s[2:3] offset:24 th:TH_ATOMIC_RETURN scope:SCOPE_SYS
	s_wait_loadcnt 0x0
	v_cmp_ne_u64_e32 vcc_lo, v[4:5], v[10:11]
	s_and_b32 exec_lo, exec_lo, vcc_lo
	s_cbranch_execz .LBB3_913
; %bb.911:                              ;   in Loop: Header=BB3_3 Depth=1
	s_mov_b32 s4, 0
.LBB3_912:                              ;   Parent Loop BB3_3 Depth=1
                                        ; =>  This Inner Loop Header: Depth=2
	v_dual_mov_b32 v2, s0 :: v_dual_mov_b32 v3, s1
	s_sleep 1
	global_store_b64 v[6:7], v[4:5], off
	global_wb scope:SCOPE_SYS
	s_wait_storecnt 0x0
	s_wait_xcnt 0x0
	global_atomic_cmpswap_b64 v[2:3], v53, v[2:5], s[2:3] offset:24 th:TH_ATOMIC_RETURN scope:SCOPE_SYS
	s_wait_loadcnt 0x0
	v_cmp_eq_u64_e32 vcc_lo, v[2:3], v[4:5]
	v_mov_b64_e32 v[4:5], v[2:3]
	s_or_b32 s4, vcc_lo, s4
	s_delay_alu instid0(SALU_CYCLE_1)
	s_and_not1_b32 exec_lo, exec_lo, s4
	s_cbranch_execnz .LBB3_912
.LBB3_913:                              ;   in Loop: Header=BB3_3 Depth=1
	s_or_b32 exec_lo, exec_lo, s6
	s_delay_alu instid0(SALU_CYCLE_1)
	s_and_b32 vcc_lo, exec_lo, s63
	s_cbranch_vccz .LBB3_1075
; %bb.914:                              ;   in Loop: Header=BB3_3 Depth=1
	s_wait_loadcnt 0x0
	v_dual_mov_b32 v3, v1 :: v_dual_bitop2_b32 v24, 2, v0 bitop3:0x40
	v_and_b32_e32 v2, -3, v0
	s_mov_b64 s[4:5], 34
	s_mov_b64 s[6:7], s[28:29]
	s_branch .LBB3_916
.LBB3_915:                              ;   in Loop: Header=BB3_916 Depth=2
	s_or_b32 exec_lo, exec_lo, s12
	s_sub_nc_u64 s[4:5], s[4:5], s[8:9]
	s_add_nc_u64 s[6:7], s[6:7], s[8:9]
	s_cmp_lg_u64 s[4:5], 0
	s_cbranch_scc0 .LBB3_1073
.LBB3_916:                              ;   Parent Loop BB3_3 Depth=1
                                        ; =>  This Loop Header: Depth=2
                                        ;       Child Loop BB3_919 Depth 3
                                        ;       Child Loop BB3_926 Depth 3
	;; [unrolled: 1-line block ×11, first 2 shown]
	v_min_u64 v[4:5], s[4:5], 56
	v_cmp_gt_u64_e64 s0, s[4:5], 7
	s_and_b32 vcc_lo, exec_lo, s0
	v_readfirstlane_b32 s8, v4
	v_readfirstlane_b32 s9, v5
	s_cbranch_vccnz .LBB3_921
; %bb.917:                              ;   in Loop: Header=BB3_916 Depth=2
	v_mov_b64_e32 v[4:5], 0
	s_cmp_eq_u64 s[4:5], 0
	s_cbranch_scc1 .LBB3_920
; %bb.918:                              ;   in Loop: Header=BB3_916 Depth=2
	s_mov_b64 s[0:1], 0
	s_mov_b64 s[10:11], 0
.LBB3_919:                              ;   Parent Loop BB3_3 Depth=1
                                        ;     Parent Loop BB3_916 Depth=2
                                        ; =>    This Inner Loop Header: Depth=3
	s_wait_xcnt 0x0
	s_add_nc_u64 s[12:13], s[6:7], s[10:11]
	s_add_nc_u64 s[10:11], s[10:11], 1
	global_load_u8 v6, v53, s[12:13]
	s_cmp_lg_u32 s8, s10
	s_wait_loadcnt 0x0
	v_and_b32_e32 v52, 0xffff, v6
	s_delay_alu instid0(VALU_DEP_1) | instskip(SKIP_1) | instid1(VALU_DEP_1)
	v_lshlrev_b64_e32 v[6:7], s0, v[52:53]
	s_add_nc_u64 s[0:1], s[0:1], 8
	v_or_b32_e32 v4, v6, v4
	s_delay_alu instid0(VALU_DEP_2)
	v_or_b32_e32 v5, v7, v5
	s_cbranch_scc1 .LBB3_919
.LBB3_920:                              ;   in Loop: Header=BB3_916 Depth=2
	s_mov_b64 s[0:1], s[6:7]
	s_mov_b32 s17, 0
	s_cbranch_execz .LBB3_922
	s_branch .LBB3_923
.LBB3_921:                              ;   in Loop: Header=BB3_916 Depth=2
	s_add_nc_u64 s[0:1], s[6:7], 8
	s_mov_b32 s17, 0
.LBB3_922:                              ;   in Loop: Header=BB3_916 Depth=2
	global_load_b64 v[4:5], v53, s[6:7]
	s_add_co_i32 s17, s8, -8
.LBB3_923:                              ;   in Loop: Header=BB3_916 Depth=2
	s_delay_alu instid0(SALU_CYCLE_1)
	s_cmp_gt_u32 s17, 7
	s_cbranch_scc1 .LBB3_928
; %bb.924:                              ;   in Loop: Header=BB3_916 Depth=2
	v_mov_b64_e32 v[6:7], 0
	s_cmp_eq_u32 s17, 0
	s_cbranch_scc1 .LBB3_927
; %bb.925:                              ;   in Loop: Header=BB3_916 Depth=2
	s_mov_b64 s[10:11], 0
	s_wait_xcnt 0x0
	s_mov_b64 s[12:13], 0
.LBB3_926:                              ;   Parent Loop BB3_3 Depth=1
                                        ;     Parent Loop BB3_916 Depth=2
                                        ; =>    This Inner Loop Header: Depth=3
	s_wait_xcnt 0x0
	s_add_nc_u64 s[18:19], s[0:1], s[12:13]
	s_add_nc_u64 s[12:13], s[12:13], 1
	global_load_u8 v8, v53, s[18:19]
	s_cmp_lg_u32 s17, s12
	s_wait_loadcnt 0x0
	v_and_b32_e32 v52, 0xffff, v8
	s_delay_alu instid0(VALU_DEP_1) | instskip(SKIP_1) | instid1(VALU_DEP_1)
	v_lshlrev_b64_e32 v[8:9], s10, v[52:53]
	s_add_nc_u64 s[10:11], s[10:11], 8
	v_or_b32_e32 v6, v8, v6
	s_delay_alu instid0(VALU_DEP_2)
	v_or_b32_e32 v7, v9, v7
	s_cbranch_scc1 .LBB3_926
.LBB3_927:                              ;   in Loop: Header=BB3_916 Depth=2
	s_wait_xcnt 0x0
	s_mov_b64 s[10:11], s[0:1]
	s_mov_b32 s18, 0
	s_cbranch_execz .LBB3_929
	s_branch .LBB3_930
.LBB3_928:                              ;   in Loop: Header=BB3_916 Depth=2
	s_add_nc_u64 s[10:11], s[0:1], 8
	s_wait_xcnt 0x0
                                        ; implicit-def: $vgpr6_vgpr7
	s_mov_b32 s18, 0
.LBB3_929:                              ;   in Loop: Header=BB3_916 Depth=2
	global_load_b64 v[6:7], v53, s[0:1]
	s_add_co_i32 s18, s17, -8
.LBB3_930:                              ;   in Loop: Header=BB3_916 Depth=2
	s_delay_alu instid0(SALU_CYCLE_1)
	s_cmp_gt_u32 s18, 7
	s_cbranch_scc1 .LBB3_935
; %bb.931:                              ;   in Loop: Header=BB3_916 Depth=2
	v_mov_b64_e32 v[8:9], 0
	s_cmp_eq_u32 s18, 0
	s_cbranch_scc1 .LBB3_934
; %bb.932:                              ;   in Loop: Header=BB3_916 Depth=2
	s_wait_xcnt 0x0
	s_mov_b64 s[0:1], 0
	s_mov_b64 s[12:13], 0
.LBB3_933:                              ;   Parent Loop BB3_3 Depth=1
                                        ;     Parent Loop BB3_916 Depth=2
                                        ; =>    This Inner Loop Header: Depth=3
	s_wait_xcnt 0x0
	s_add_nc_u64 s[30:31], s[10:11], s[12:13]
	s_add_nc_u64 s[12:13], s[12:13], 1
	global_load_u8 v10, v53, s[30:31]
	s_cmp_lg_u32 s18, s12
	s_wait_loadcnt 0x0
	v_and_b32_e32 v52, 0xffff, v10
	s_delay_alu instid0(VALU_DEP_1) | instskip(SKIP_1) | instid1(VALU_DEP_1)
	v_lshlrev_b64_e32 v[10:11], s0, v[52:53]
	s_add_nc_u64 s[0:1], s[0:1], 8
	v_or_b32_e32 v8, v10, v8
	s_delay_alu instid0(VALU_DEP_2)
	v_or_b32_e32 v9, v11, v9
	s_cbranch_scc1 .LBB3_933
.LBB3_934:                              ;   in Loop: Header=BB3_916 Depth=2
	s_wait_xcnt 0x0
	s_mov_b64 s[0:1], s[10:11]
	s_mov_b32 s17, 0
	s_cbranch_execz .LBB3_936
	s_branch .LBB3_937
.LBB3_935:                              ;   in Loop: Header=BB3_916 Depth=2
	s_wait_xcnt 0x0
	s_add_nc_u64 s[0:1], s[10:11], 8
	s_mov_b32 s17, 0
.LBB3_936:                              ;   in Loop: Header=BB3_916 Depth=2
	global_load_b64 v[8:9], v53, s[10:11]
	s_add_co_i32 s17, s18, -8
.LBB3_937:                              ;   in Loop: Header=BB3_916 Depth=2
	s_delay_alu instid0(SALU_CYCLE_1)
	s_cmp_gt_u32 s17, 7
	s_cbranch_scc1 .LBB3_942
; %bb.938:                              ;   in Loop: Header=BB3_916 Depth=2
	v_mov_b64_e32 v[10:11], 0
	s_cmp_eq_u32 s17, 0
	s_cbranch_scc1 .LBB3_941
; %bb.939:                              ;   in Loop: Header=BB3_916 Depth=2
	s_wait_xcnt 0x0
	s_mov_b64 s[10:11], 0
	s_mov_b64 s[12:13], 0
.LBB3_940:                              ;   Parent Loop BB3_3 Depth=1
                                        ;     Parent Loop BB3_916 Depth=2
                                        ; =>    This Inner Loop Header: Depth=3
	s_wait_xcnt 0x0
	s_add_nc_u64 s[18:19], s[0:1], s[12:13]
	s_add_nc_u64 s[12:13], s[12:13], 1
	global_load_u8 v12, v53, s[18:19]
	s_cmp_lg_u32 s17, s12
	s_wait_loadcnt 0x0
	v_and_b32_e32 v52, 0xffff, v12
	s_delay_alu instid0(VALU_DEP_1) | instskip(SKIP_1) | instid1(VALU_DEP_1)
	v_lshlrev_b64_e32 v[12:13], s10, v[52:53]
	s_add_nc_u64 s[10:11], s[10:11], 8
	v_or_b32_e32 v10, v12, v10
	s_delay_alu instid0(VALU_DEP_2)
	v_or_b32_e32 v11, v13, v11
	s_cbranch_scc1 .LBB3_940
.LBB3_941:                              ;   in Loop: Header=BB3_916 Depth=2
	s_wait_xcnt 0x0
	s_mov_b64 s[10:11], s[0:1]
	s_mov_b32 s18, 0
	s_cbranch_execz .LBB3_943
	s_branch .LBB3_944
.LBB3_942:                              ;   in Loop: Header=BB3_916 Depth=2
	s_wait_xcnt 0x0
	s_add_nc_u64 s[10:11], s[0:1], 8
                                        ; implicit-def: $vgpr10_vgpr11
	s_mov_b32 s18, 0
.LBB3_943:                              ;   in Loop: Header=BB3_916 Depth=2
	global_load_b64 v[10:11], v53, s[0:1]
	s_add_co_i32 s18, s17, -8
.LBB3_944:                              ;   in Loop: Header=BB3_916 Depth=2
	s_delay_alu instid0(SALU_CYCLE_1)
	s_cmp_gt_u32 s18, 7
	s_cbranch_scc1 .LBB3_949
; %bb.945:                              ;   in Loop: Header=BB3_916 Depth=2
	v_mov_b64_e32 v[12:13], 0
	s_cmp_eq_u32 s18, 0
	s_cbranch_scc1 .LBB3_948
; %bb.946:                              ;   in Loop: Header=BB3_916 Depth=2
	s_wait_xcnt 0x0
	s_mov_b64 s[0:1], 0
	s_mov_b64 s[12:13], 0
.LBB3_947:                              ;   Parent Loop BB3_3 Depth=1
                                        ;     Parent Loop BB3_916 Depth=2
                                        ; =>    This Inner Loop Header: Depth=3
	s_wait_xcnt 0x0
	s_add_nc_u64 s[30:31], s[10:11], s[12:13]
	s_add_nc_u64 s[12:13], s[12:13], 1
	global_load_u8 v14, v53, s[30:31]
	s_cmp_lg_u32 s18, s12
	s_wait_loadcnt 0x0
	v_and_b32_e32 v52, 0xffff, v14
	s_delay_alu instid0(VALU_DEP_1) | instskip(SKIP_1) | instid1(VALU_DEP_1)
	v_lshlrev_b64_e32 v[14:15], s0, v[52:53]
	s_add_nc_u64 s[0:1], s[0:1], 8
	v_or_b32_e32 v12, v14, v12
	s_delay_alu instid0(VALU_DEP_2)
	v_or_b32_e32 v13, v15, v13
	s_cbranch_scc1 .LBB3_947
.LBB3_948:                              ;   in Loop: Header=BB3_916 Depth=2
	s_wait_xcnt 0x0
	s_mov_b64 s[0:1], s[10:11]
	s_mov_b32 s17, 0
	s_cbranch_execz .LBB3_950
	s_branch .LBB3_951
.LBB3_949:                              ;   in Loop: Header=BB3_916 Depth=2
	s_wait_xcnt 0x0
	s_add_nc_u64 s[0:1], s[10:11], 8
	s_mov_b32 s17, 0
.LBB3_950:                              ;   in Loop: Header=BB3_916 Depth=2
	global_load_b64 v[12:13], v53, s[10:11]
	s_add_co_i32 s17, s18, -8
.LBB3_951:                              ;   in Loop: Header=BB3_916 Depth=2
	s_delay_alu instid0(SALU_CYCLE_1)
	s_cmp_gt_u32 s17, 7
	s_cbranch_scc1 .LBB3_956
; %bb.952:                              ;   in Loop: Header=BB3_916 Depth=2
	v_mov_b64_e32 v[14:15], 0
	s_cmp_eq_u32 s17, 0
	s_cbranch_scc1 .LBB3_955
; %bb.953:                              ;   in Loop: Header=BB3_916 Depth=2
	s_wait_xcnt 0x0
	s_mov_b64 s[10:11], 0
	s_mov_b64 s[12:13], 0
.LBB3_954:                              ;   Parent Loop BB3_3 Depth=1
                                        ;     Parent Loop BB3_916 Depth=2
                                        ; =>    This Inner Loop Header: Depth=3
	s_wait_xcnt 0x0
	s_add_nc_u64 s[18:19], s[0:1], s[12:13]
	s_add_nc_u64 s[12:13], s[12:13], 1
	global_load_u8 v16, v53, s[18:19]
	s_cmp_lg_u32 s17, s12
	s_wait_loadcnt 0x0
	v_and_b32_e32 v52, 0xffff, v16
	s_delay_alu instid0(VALU_DEP_1) | instskip(SKIP_1) | instid1(VALU_DEP_1)
	v_lshlrev_b64_e32 v[16:17], s10, v[52:53]
	s_add_nc_u64 s[10:11], s[10:11], 8
	v_or_b32_e32 v14, v16, v14
	s_delay_alu instid0(VALU_DEP_2)
	v_or_b32_e32 v15, v17, v15
	s_cbranch_scc1 .LBB3_954
.LBB3_955:                              ;   in Loop: Header=BB3_916 Depth=2
	s_wait_xcnt 0x0
	s_mov_b64 s[10:11], s[0:1]
	s_mov_b32 s18, 0
	s_cbranch_execz .LBB3_957
	s_branch .LBB3_958
.LBB3_956:                              ;   in Loop: Header=BB3_916 Depth=2
	s_wait_xcnt 0x0
	s_add_nc_u64 s[10:11], s[0:1], 8
                                        ; implicit-def: $vgpr14_vgpr15
	s_mov_b32 s18, 0
.LBB3_957:                              ;   in Loop: Header=BB3_916 Depth=2
	global_load_b64 v[14:15], v53, s[0:1]
	s_add_co_i32 s18, s17, -8
.LBB3_958:                              ;   in Loop: Header=BB3_916 Depth=2
	s_delay_alu instid0(SALU_CYCLE_1)
	s_cmp_gt_u32 s18, 7
	s_cbranch_scc1 .LBB3_963
; %bb.959:                              ;   in Loop: Header=BB3_916 Depth=2
	v_mov_b64_e32 v[16:17], 0
	s_cmp_eq_u32 s18, 0
	s_cbranch_scc1 .LBB3_962
; %bb.960:                              ;   in Loop: Header=BB3_916 Depth=2
	s_wait_xcnt 0x0
	s_mov_b64 s[0:1], 0
	s_mov_b64 s[12:13], s[10:11]
.LBB3_961:                              ;   Parent Loop BB3_3 Depth=1
                                        ;     Parent Loop BB3_916 Depth=2
                                        ; =>    This Inner Loop Header: Depth=3
	global_load_u8 v18, v53, s[12:13]
	s_add_co_i32 s18, s18, -1
	s_wait_xcnt 0x0
	s_add_nc_u64 s[12:13], s[12:13], 1
	s_cmp_lg_u32 s18, 0
	s_wait_loadcnt 0x0
	v_and_b32_e32 v52, 0xffff, v18
	s_delay_alu instid0(VALU_DEP_1) | instskip(SKIP_1) | instid1(VALU_DEP_1)
	v_lshlrev_b64_e32 v[18:19], s0, v[52:53]
	s_add_nc_u64 s[0:1], s[0:1], 8
	v_or_b32_e32 v16, v18, v16
	s_delay_alu instid0(VALU_DEP_2)
	v_or_b32_e32 v17, v19, v17
	s_cbranch_scc1 .LBB3_961
.LBB3_962:                              ;   in Loop: Header=BB3_916 Depth=2
	s_wait_xcnt 0x0
	s_cbranch_execz .LBB3_964
	s_branch .LBB3_965
.LBB3_963:                              ;   in Loop: Header=BB3_916 Depth=2
	s_wait_xcnt 0x0
.LBB3_964:                              ;   in Loop: Header=BB3_916 Depth=2
	global_load_b64 v[16:17], v53, s[10:11]
.LBB3_965:                              ;   in Loop: Header=BB3_916 Depth=2
	v_readfirstlane_b32 s0, v80
	v_mov_b64_e32 v[26:27], 0
	s_delay_alu instid0(VALU_DEP_2)
	v_cmp_eq_u32_e64 s0, s0, v80
	s_wait_xcnt 0x0
	s_and_saveexec_b32 s1, s0
	s_cbranch_execz .LBB3_971
; %bb.966:                              ;   in Loop: Header=BB3_916 Depth=2
	global_load_b64 v[20:21], v53, s[2:3] offset:24 scope:SCOPE_SYS
	s_wait_loadcnt 0x0
	global_inv scope:SCOPE_SYS
	s_clause 0x1
	global_load_b64 v[18:19], v53, s[2:3] offset:40
	global_load_b64 v[26:27], v53, s[2:3]
	s_mov_b32 s10, exec_lo
	s_wait_loadcnt 0x1
	v_and_b32_e32 v18, v18, v20
	v_and_b32_e32 v19, v19, v21
	s_delay_alu instid0(VALU_DEP_1) | instskip(SKIP_1) | instid1(VALU_DEP_1)
	v_mul_u64_e32 v[18:19], 24, v[18:19]
	s_wait_loadcnt 0x0
	v_add_nc_u64_e32 v[18:19], v[26:27], v[18:19]
	global_load_b64 v[18:19], v[18:19], off scope:SCOPE_SYS
	s_wait_xcnt 0x0
	s_wait_loadcnt 0x0
	global_atomic_cmpswap_b64 v[26:27], v53, v[18:21], s[2:3] offset:24 th:TH_ATOMIC_RETURN scope:SCOPE_SYS
	s_wait_loadcnt 0x0
	global_inv scope:SCOPE_SYS
	s_wait_xcnt 0x0
	v_cmpx_ne_u64_e64 v[26:27], v[20:21]
	s_cbranch_execz .LBB3_970
; %bb.967:                              ;   in Loop: Header=BB3_916 Depth=2
	s_mov_b32 s11, 0
.LBB3_968:                              ;   Parent Loop BB3_3 Depth=1
                                        ;     Parent Loop BB3_916 Depth=2
                                        ; =>    This Inner Loop Header: Depth=3
	s_sleep 1
	s_clause 0x1
	global_load_b64 v[18:19], v53, s[2:3] offset:40
	global_load_b64 v[28:29], v53, s[2:3]
	v_mov_b64_e32 v[20:21], v[26:27]
	s_wait_loadcnt 0x1
	s_delay_alu instid0(VALU_DEP_1) | instskip(SKIP_1) | instid1(VALU_DEP_1)
	v_and_b32_e32 v18, v18, v20
	s_wait_loadcnt 0x0
	v_mad_nc_u64_u32 v[26:27], v18, 24, v[28:29]
	s_delay_alu instid0(VALU_DEP_3) | instskip(NEXT) | instid1(VALU_DEP_1)
	v_and_b32_e32 v18, v19, v21
	v_mad_u32 v27, v18, 24, v27
	global_load_b64 v[18:19], v[26:27], off scope:SCOPE_SYS
	s_wait_xcnt 0x0
	s_wait_loadcnt 0x0
	global_atomic_cmpswap_b64 v[26:27], v53, v[18:21], s[2:3] offset:24 th:TH_ATOMIC_RETURN scope:SCOPE_SYS
	s_wait_loadcnt 0x0
	global_inv scope:SCOPE_SYS
	v_cmp_eq_u64_e32 vcc_lo, v[26:27], v[20:21]
	s_or_b32 s11, vcc_lo, s11
	s_wait_xcnt 0x0
	s_and_not1_b32 exec_lo, exec_lo, s11
	s_cbranch_execnz .LBB3_968
; %bb.969:                              ;   in Loop: Header=BB3_916 Depth=2
	s_or_b32 exec_lo, exec_lo, s11
.LBB3_970:                              ;   in Loop: Header=BB3_916 Depth=2
	s_delay_alu instid0(SALU_CYCLE_1)
	s_or_b32 exec_lo, exec_lo, s10
.LBB3_971:                              ;   in Loop: Header=BB3_916 Depth=2
	s_delay_alu instid0(SALU_CYCLE_1)
	s_or_b32 exec_lo, exec_lo, s1
	s_clause 0x1
	global_load_b64 v[28:29], v53, s[2:3] offset:40
	global_load_b128 v[18:21], v53, s[2:3]
	v_readfirstlane_b32 s10, v26
	v_readfirstlane_b32 s11, v27
	s_mov_b32 s1, exec_lo
	s_wait_loadcnt 0x1
	v_and_b32_e32 v28, s10, v28
	v_and_b32_e32 v29, s11, v29
	s_delay_alu instid0(VALU_DEP_1) | instskip(SKIP_1) | instid1(VALU_DEP_1)
	v_mul_u64_e32 v[26:27], 24, v[28:29]
	s_wait_loadcnt 0x0
	v_add_nc_u64_e32 v[26:27], v[18:19], v[26:27]
	s_wait_xcnt 0x0
	s_and_saveexec_b32 s12, s0
	s_cbranch_execz .LBB3_973
; %bb.972:                              ;   in Loop: Header=BB3_916 Depth=2
	v_mov_b32_e32 v52, s1
	global_store_b128 v[26:27], v[52:55], off offset:8
.LBB3_973:                              ;   in Loop: Header=BB3_916 Depth=2
	s_wait_xcnt 0x0
	s_or_b32 exec_lo, exec_lo, s12
	v_cmp_lt_u64_e64 vcc_lo, s[4:5], 57
	v_lshlrev_b64_e32 v[28:29], 12, v[28:29]
	v_and_b32_e32 v2, 0xffffff1f, v2
	s_lshl_b32 s1, s8, 2
	s_delay_alu instid0(SALU_CYCLE_1) | instskip(SKIP_1) | instid1(VALU_DEP_3)
	s_add_co_i32 s1, s1, 28
	v_cndmask_b32_e32 v23, 0, v24, vcc_lo
	v_add_nc_u64_e32 v[20:21], v[20:21], v[28:29]
	s_delay_alu instid0(VALU_DEP_2) | instskip(NEXT) | instid1(VALU_DEP_2)
	v_or_b32_e32 v2, v2, v23
	v_readfirstlane_b32 s12, v20
	s_delay_alu instid0(VALU_DEP_3) | instskip(NEXT) | instid1(VALU_DEP_3)
	v_readfirstlane_b32 s13, v21
	v_and_or_b32 v2, 0x1e0, s1, v2
	s_clause 0x3
	global_store_b128 v22, v[2:5], s[12:13]
	global_store_b128 v22, v[6:9], s[12:13] offset:16
	global_store_b128 v22, v[10:13], s[12:13] offset:32
	;; [unrolled: 1-line block ×3, first 2 shown]
	s_wait_xcnt 0x0
	s_and_saveexec_b32 s1, s0
	s_cbranch_execz .LBB3_981
; %bb.974:                              ;   in Loop: Header=BB3_916 Depth=2
	s_clause 0x1
	global_load_b64 v[10:11], v53, s[2:3] offset:32 scope:SCOPE_SYS
	global_load_b64 v[2:3], v53, s[2:3] offset:40
	s_mov_b32 s12, exec_lo
	v_dual_mov_b32 v8, s10 :: v_dual_mov_b32 v9, s11
	s_wait_loadcnt 0x0
	v_and_b32_e32 v3, s11, v3
	v_and_b32_e32 v2, s10, v2
	s_delay_alu instid0(VALU_DEP_1) | instskip(NEXT) | instid1(VALU_DEP_1)
	v_mul_u64_e32 v[2:3], 24, v[2:3]
	v_add_nc_u64_e32 v[6:7], v[18:19], v[2:3]
	global_store_b64 v[6:7], v[10:11], off
	global_wb scope:SCOPE_SYS
	s_wait_storecnt 0x0
	s_wait_xcnt 0x0
	global_atomic_cmpswap_b64 v[4:5], v53, v[8:11], s[2:3] offset:32 th:TH_ATOMIC_RETURN scope:SCOPE_SYS
	s_wait_loadcnt 0x0
	v_cmpx_ne_u64_e64 v[4:5], v[10:11]
	s_cbranch_execz .LBB3_977
; %bb.975:                              ;   in Loop: Header=BB3_916 Depth=2
	s_mov_b32 s13, 0
.LBB3_976:                              ;   Parent Loop BB3_3 Depth=1
                                        ;     Parent Loop BB3_916 Depth=2
                                        ; =>    This Inner Loop Header: Depth=3
	v_dual_mov_b32 v2, s10 :: v_dual_mov_b32 v3, s11
	s_sleep 1
	global_store_b64 v[6:7], v[4:5], off
	global_wb scope:SCOPE_SYS
	s_wait_storecnt 0x0
	s_wait_xcnt 0x0
	global_atomic_cmpswap_b64 v[2:3], v53, v[2:5], s[2:3] offset:32 th:TH_ATOMIC_RETURN scope:SCOPE_SYS
	s_wait_loadcnt 0x0
	v_cmp_eq_u64_e32 vcc_lo, v[2:3], v[4:5]
	v_mov_b64_e32 v[4:5], v[2:3]
	s_or_b32 s13, vcc_lo, s13
	s_delay_alu instid0(SALU_CYCLE_1)
	s_and_not1_b32 exec_lo, exec_lo, s13
	s_cbranch_execnz .LBB3_976
.LBB3_977:                              ;   in Loop: Header=BB3_916 Depth=2
	s_or_b32 exec_lo, exec_lo, s12
	global_load_b64 v[2:3], v53, s[2:3] offset:16
	s_mov_b32 s13, exec_lo
	s_mov_b32 s12, exec_lo
	v_mbcnt_lo_u32_b32 v4, s13, 0
	s_wait_xcnt 0x0
	s_delay_alu instid0(VALU_DEP_1)
	v_cmpx_eq_u32_e32 0, v4
	s_cbranch_execz .LBB3_979
; %bb.978:                              ;   in Loop: Header=BB3_916 Depth=2
	s_bcnt1_i32_b32 s13, s13
	s_delay_alu instid0(SALU_CYCLE_1)
	v_mov_b32_e32 v52, s13
	global_wb scope:SCOPE_SYS
	s_wait_loadcnt 0x0
	s_wait_storecnt 0x0
	global_atomic_add_u64 v[2:3], v[52:53], off offset:8 scope:SCOPE_SYS
.LBB3_979:                              ;   in Loop: Header=BB3_916 Depth=2
	s_wait_xcnt 0x0
	s_or_b32 exec_lo, exec_lo, s12
	s_wait_loadcnt 0x0
	global_load_b64 v[4:5], v[2:3], off offset:16
	s_wait_loadcnt 0x0
	v_cmp_eq_u64_e32 vcc_lo, 0, v[4:5]
	s_cbranch_vccnz .LBB3_981
; %bb.980:                              ;   in Loop: Header=BB3_916 Depth=2
	global_load_b32 v52, v[2:3], off offset:24
	s_wait_loadcnt 0x0
	v_readfirstlane_b32 s12, v52
	global_wb scope:SCOPE_SYS
	s_wait_storecnt 0x0
	s_wait_xcnt 0x0
	global_store_b64 v[4:5], v[52:53], off scope:SCOPE_SYS
	s_and_b32 m0, s12, 0xffffff
	s_sendmsg sendmsg(MSG_INTERRUPT)
.LBB3_981:                              ;   in Loop: Header=BB3_916 Depth=2
	s_wait_xcnt 0x0
	s_or_b32 exec_lo, exec_lo, s1
	v_mov_b32_e32 v23, v53
	s_delay_alu instid0(VALU_DEP_1)
	v_add_nc_u64_e32 v[2:3], v[20:21], v[22:23]
	s_branch .LBB3_985
.LBB3_982:                              ;   in Loop: Header=BB3_985 Depth=3
	s_wait_xcnt 0x0
	s_or_b32 exec_lo, exec_lo, s1
	s_delay_alu instid0(VALU_DEP_1)
	v_readfirstlane_b32 s1, v4
	s_cmp_eq_u32 s1, 0
	s_cbranch_scc1 .LBB3_984
; %bb.983:                              ;   in Loop: Header=BB3_985 Depth=3
	s_sleep 1
	s_cbranch_execnz .LBB3_985
	s_branch .LBB3_987
.LBB3_984:                              ;   in Loop: Header=BB3_916 Depth=2
	s_branch .LBB3_987
.LBB3_985:                              ;   Parent Loop BB3_3 Depth=1
                                        ;     Parent Loop BB3_916 Depth=2
                                        ; =>    This Inner Loop Header: Depth=3
	v_mov_b32_e32 v4, 1
	s_and_saveexec_b32 s1, s0
	s_cbranch_execz .LBB3_982
; %bb.986:                              ;   in Loop: Header=BB3_985 Depth=3
	global_load_b32 v4, v[26:27], off offset:20 scope:SCOPE_SYS
	s_wait_loadcnt 0x0
	global_inv scope:SCOPE_SYS
	v_and_b32_e32 v4, 1, v4
	s_branch .LBB3_982
.LBB3_987:                              ;   in Loop: Header=BB3_916 Depth=2
	global_load_b64 v[2:3], v[2:3], off
	s_wait_xcnt 0x0
	s_and_saveexec_b32 s12, s0
	s_cbranch_execz .LBB3_915
; %bb.988:                              ;   in Loop: Header=BB3_916 Depth=2
	s_clause 0x2
	global_load_b64 v[4:5], v53, s[2:3] offset:40
	global_load_b64 v[12:13], v53, s[2:3] offset:24 scope:SCOPE_SYS
	global_load_b64 v[6:7], v53, s[2:3]
	s_wait_loadcnt 0x2
	v_readfirstlane_b32 s18, v4
	v_readfirstlane_b32 s19, v5
	s_add_nc_u64 s[0:1], s[18:19], 1
	s_delay_alu instid0(SALU_CYCLE_1) | instskip(NEXT) | instid1(SALU_CYCLE_1)
	s_add_nc_u64 s[10:11], s[0:1], s[10:11]
	s_cmp_eq_u64 s[10:11], 0
	s_cselect_b32 s1, s1, s11
	s_cselect_b32 s0, s0, s10
	s_delay_alu instid0(SALU_CYCLE_1) | instskip(SKIP_1) | instid1(SALU_CYCLE_1)
	v_dual_mov_b32 v11, s1 :: v_dual_mov_b32 v10, s0
	s_and_b64 s[10:11], s[0:1], s[18:19]
	s_mul_u64 s[10:11], s[10:11], 24
	s_wait_loadcnt 0x0
	v_add_nc_u64_e32 v[8:9], s[10:11], v[6:7]
	global_store_b64 v[8:9], v[12:13], off
	global_wb scope:SCOPE_SYS
	s_wait_storecnt 0x0
	s_wait_xcnt 0x0
	global_atomic_cmpswap_b64 v[6:7], v53, v[10:13], s[2:3] offset:24 th:TH_ATOMIC_RETURN scope:SCOPE_SYS
	s_wait_loadcnt 0x0
	v_cmp_ne_u64_e32 vcc_lo, v[6:7], v[12:13]
	s_and_b32 exec_lo, exec_lo, vcc_lo
	s_cbranch_execz .LBB3_915
; %bb.989:                              ;   in Loop: Header=BB3_916 Depth=2
	s_mov_b32 s10, 0
.LBB3_990:                              ;   Parent Loop BB3_3 Depth=1
                                        ;     Parent Loop BB3_916 Depth=2
                                        ; =>    This Inner Loop Header: Depth=3
	v_dual_mov_b32 v4, s0 :: v_dual_mov_b32 v5, s1
	s_sleep 1
	global_store_b64 v[8:9], v[6:7], off
	global_wb scope:SCOPE_SYS
	s_wait_storecnt 0x0
	s_wait_xcnt 0x0
	global_atomic_cmpswap_b64 v[4:5], v53, v[4:7], s[2:3] offset:24 th:TH_ATOMIC_RETURN scope:SCOPE_SYS
	s_wait_loadcnt 0x0
	v_cmp_eq_u64_e32 vcc_lo, v[4:5], v[6:7]
	v_mov_b64_e32 v[6:7], v[4:5]
	s_or_b32 s10, vcc_lo, s10
	s_delay_alu instid0(SALU_CYCLE_1)
	s_and_not1_b32 exec_lo, exec_lo, s10
	s_cbranch_execnz .LBB3_990
	s_branch .LBB3_915
.LBB3_991:                              ;   in Loop: Header=BB3_3 Depth=1
	global_load_b64 v[0:1], v[0:1], off
	s_wait_xcnt 0x0
	s_and_saveexec_b32 s6, s0
	s_cbranch_execz .LBB3_995
; %bb.992:                              ;   in Loop: Header=BB3_3 Depth=1
	s_clause 0x2
	global_load_b64 v[2:3], v53, s[2:3] offset:40
	global_load_b64 v[10:11], v53, s[2:3] offset:24 scope:SCOPE_SYS
	global_load_b64 v[4:5], v53, s[2:3]
	s_wait_loadcnt 0x2
	v_readfirstlane_b32 s8, v2
	v_readfirstlane_b32 s9, v3
	s_add_nc_u64 s[0:1], s[8:9], 1
	s_delay_alu instid0(SALU_CYCLE_1) | instskip(NEXT) | instid1(SALU_CYCLE_1)
	s_add_nc_u64 s[4:5], s[0:1], s[4:5]
	s_cmp_eq_u64 s[4:5], 0
	s_cselect_b32 s1, s1, s5
	s_cselect_b32 s0, s0, s4
	s_delay_alu instid0(SALU_CYCLE_1) | instskip(SKIP_1) | instid1(SALU_CYCLE_1)
	v_dual_mov_b32 v9, s1 :: v_dual_mov_b32 v8, s0
	s_and_b64 s[4:5], s[0:1], s[8:9]
	s_mul_u64 s[4:5], s[4:5], 24
	s_wait_loadcnt 0x0
	v_add_nc_u64_e32 v[6:7], s[4:5], v[4:5]
	global_store_b64 v[6:7], v[10:11], off
	global_wb scope:SCOPE_SYS
	s_wait_storecnt 0x0
	s_wait_xcnt 0x0
	global_atomic_cmpswap_b64 v[4:5], v53, v[8:11], s[2:3] offset:24 th:TH_ATOMIC_RETURN scope:SCOPE_SYS
	s_wait_loadcnt 0x0
	v_cmp_ne_u64_e32 vcc_lo, v[4:5], v[10:11]
	s_and_b32 exec_lo, exec_lo, vcc_lo
	s_cbranch_execz .LBB3_995
; %bb.993:                              ;   in Loop: Header=BB3_3 Depth=1
	s_mov_b32 s4, 0
.LBB3_994:                              ;   Parent Loop BB3_3 Depth=1
                                        ; =>  This Inner Loop Header: Depth=2
	v_dual_mov_b32 v2, s0 :: v_dual_mov_b32 v3, s1
	s_sleep 1
	global_store_b64 v[6:7], v[4:5], off
	global_wb scope:SCOPE_SYS
	s_wait_storecnt 0x0
	s_wait_xcnt 0x0
	global_atomic_cmpswap_b64 v[2:3], v53, v[2:5], s[2:3] offset:24 th:TH_ATOMIC_RETURN scope:SCOPE_SYS
	s_wait_loadcnt 0x0
	v_cmp_eq_u64_e32 vcc_lo, v[2:3], v[4:5]
	v_mov_b64_e32 v[4:5], v[2:3]
	s_or_b32 s4, vcc_lo, s4
	s_delay_alu instid0(SALU_CYCLE_1)
	s_and_not1_b32 exec_lo, exec_lo, s4
	s_cbranch_execnz .LBB3_994
.LBB3_995:                              ;   in Loop: Header=BB3_3 Depth=1
	s_or_b32 exec_lo, exec_lo, s6
	s_delay_alu instid0(SALU_CYCLE_1)
	s_and_b32 vcc_lo, exec_lo, s62
	s_cbranch_vccz .LBB3_1182
; %bb.996:                              ;   in Loop: Header=BB3_3 Depth=1
	s_wait_loadcnt 0x0
	v_dual_mov_b32 v3, v1 :: v_dual_bitop2_b32 v24, 2, v0 bitop3:0x40
	v_and_b32_e32 v2, -3, v0
	s_mov_b64 s[4:5], 34
	s_mov_b64 s[6:7], s[26:27]
	s_branch .LBB3_998
.LBB3_997:                              ;   in Loop: Header=BB3_998 Depth=2
	s_or_b32 exec_lo, exec_lo, s12
	s_sub_nc_u64 s[4:5], s[4:5], s[8:9]
	s_add_nc_u64 s[6:7], s[6:7], s[8:9]
	s_cmp_lg_u64 s[4:5], 0
	s_cbranch_scc0 .LBB3_1074
.LBB3_998:                              ;   Parent Loop BB3_3 Depth=1
                                        ; =>  This Loop Header: Depth=2
                                        ;       Child Loop BB3_1001 Depth 3
                                        ;       Child Loop BB3_1008 Depth 3
	;; [unrolled: 1-line block ×11, first 2 shown]
	v_min_u64 v[4:5], s[4:5], 56
	v_cmp_gt_u64_e64 s0, s[4:5], 7
	s_and_b32 vcc_lo, exec_lo, s0
	v_readfirstlane_b32 s8, v4
	v_readfirstlane_b32 s9, v5
	s_cbranch_vccnz .LBB3_1003
; %bb.999:                              ;   in Loop: Header=BB3_998 Depth=2
	v_mov_b64_e32 v[4:5], 0
	s_cmp_eq_u64 s[4:5], 0
	s_cbranch_scc1 .LBB3_1002
; %bb.1000:                             ;   in Loop: Header=BB3_998 Depth=2
	s_mov_b64 s[0:1], 0
	s_mov_b64 s[10:11], 0
.LBB3_1001:                             ;   Parent Loop BB3_3 Depth=1
                                        ;     Parent Loop BB3_998 Depth=2
                                        ; =>    This Inner Loop Header: Depth=3
	s_wait_xcnt 0x0
	s_add_nc_u64 s[12:13], s[6:7], s[10:11]
	s_add_nc_u64 s[10:11], s[10:11], 1
	global_load_u8 v6, v53, s[12:13]
	s_cmp_lg_u32 s8, s10
	s_wait_loadcnt 0x0
	v_and_b32_e32 v52, 0xffff, v6
	s_delay_alu instid0(VALU_DEP_1) | instskip(SKIP_1) | instid1(VALU_DEP_1)
	v_lshlrev_b64_e32 v[6:7], s0, v[52:53]
	s_add_nc_u64 s[0:1], s[0:1], 8
	v_or_b32_e32 v4, v6, v4
	s_delay_alu instid0(VALU_DEP_2)
	v_or_b32_e32 v5, v7, v5
	s_cbranch_scc1 .LBB3_1001
.LBB3_1002:                             ;   in Loop: Header=BB3_998 Depth=2
	s_mov_b64 s[0:1], s[6:7]
	s_mov_b32 s17, 0
	s_cbranch_execz .LBB3_1004
	s_branch .LBB3_1005
.LBB3_1003:                             ;   in Loop: Header=BB3_998 Depth=2
	s_add_nc_u64 s[0:1], s[6:7], 8
	s_mov_b32 s17, 0
.LBB3_1004:                             ;   in Loop: Header=BB3_998 Depth=2
	global_load_b64 v[4:5], v53, s[6:7]
	s_add_co_i32 s17, s8, -8
.LBB3_1005:                             ;   in Loop: Header=BB3_998 Depth=2
	s_delay_alu instid0(SALU_CYCLE_1)
	s_cmp_gt_u32 s17, 7
	s_cbranch_scc1 .LBB3_1010
; %bb.1006:                             ;   in Loop: Header=BB3_998 Depth=2
	v_mov_b64_e32 v[6:7], 0
	s_cmp_eq_u32 s17, 0
	s_cbranch_scc1 .LBB3_1009
; %bb.1007:                             ;   in Loop: Header=BB3_998 Depth=2
	s_mov_b64 s[10:11], 0
	s_wait_xcnt 0x0
	s_mov_b64 s[12:13], 0
.LBB3_1008:                             ;   Parent Loop BB3_3 Depth=1
                                        ;     Parent Loop BB3_998 Depth=2
                                        ; =>    This Inner Loop Header: Depth=3
	s_wait_xcnt 0x0
	s_add_nc_u64 s[18:19], s[0:1], s[12:13]
	s_add_nc_u64 s[12:13], s[12:13], 1
	global_load_u8 v8, v53, s[18:19]
	s_cmp_lg_u32 s17, s12
	s_wait_loadcnt 0x0
	v_and_b32_e32 v52, 0xffff, v8
	s_delay_alu instid0(VALU_DEP_1) | instskip(SKIP_1) | instid1(VALU_DEP_1)
	v_lshlrev_b64_e32 v[8:9], s10, v[52:53]
	s_add_nc_u64 s[10:11], s[10:11], 8
	v_or_b32_e32 v6, v8, v6
	s_delay_alu instid0(VALU_DEP_2)
	v_or_b32_e32 v7, v9, v7
	s_cbranch_scc1 .LBB3_1008
.LBB3_1009:                             ;   in Loop: Header=BB3_998 Depth=2
	s_wait_xcnt 0x0
	s_mov_b64 s[10:11], s[0:1]
	s_mov_b32 s18, 0
	s_cbranch_execz .LBB3_1011
	s_branch .LBB3_1012
.LBB3_1010:                             ;   in Loop: Header=BB3_998 Depth=2
	s_add_nc_u64 s[10:11], s[0:1], 8
	s_wait_xcnt 0x0
                                        ; implicit-def: $vgpr6_vgpr7
	s_mov_b32 s18, 0
.LBB3_1011:                             ;   in Loop: Header=BB3_998 Depth=2
	global_load_b64 v[6:7], v53, s[0:1]
	s_add_co_i32 s18, s17, -8
.LBB3_1012:                             ;   in Loop: Header=BB3_998 Depth=2
	s_delay_alu instid0(SALU_CYCLE_1)
	s_cmp_gt_u32 s18, 7
	s_cbranch_scc1 .LBB3_1017
; %bb.1013:                             ;   in Loop: Header=BB3_998 Depth=2
	v_mov_b64_e32 v[8:9], 0
	s_cmp_eq_u32 s18, 0
	s_cbranch_scc1 .LBB3_1016
; %bb.1014:                             ;   in Loop: Header=BB3_998 Depth=2
	s_wait_xcnt 0x0
	s_mov_b64 s[0:1], 0
	s_mov_b64 s[12:13], 0
.LBB3_1015:                             ;   Parent Loop BB3_3 Depth=1
                                        ;     Parent Loop BB3_998 Depth=2
                                        ; =>    This Inner Loop Header: Depth=3
	s_wait_xcnt 0x0
	s_add_nc_u64 s[30:31], s[10:11], s[12:13]
	s_add_nc_u64 s[12:13], s[12:13], 1
	global_load_u8 v10, v53, s[30:31]
	s_cmp_lg_u32 s18, s12
	s_wait_loadcnt 0x0
	v_and_b32_e32 v52, 0xffff, v10
	s_delay_alu instid0(VALU_DEP_1) | instskip(SKIP_1) | instid1(VALU_DEP_1)
	v_lshlrev_b64_e32 v[10:11], s0, v[52:53]
	s_add_nc_u64 s[0:1], s[0:1], 8
	v_or_b32_e32 v8, v10, v8
	s_delay_alu instid0(VALU_DEP_2)
	v_or_b32_e32 v9, v11, v9
	s_cbranch_scc1 .LBB3_1015
.LBB3_1016:                             ;   in Loop: Header=BB3_998 Depth=2
	s_wait_xcnt 0x0
	s_mov_b64 s[0:1], s[10:11]
	s_mov_b32 s17, 0
	s_cbranch_execz .LBB3_1018
	s_branch .LBB3_1019
.LBB3_1017:                             ;   in Loop: Header=BB3_998 Depth=2
	s_wait_xcnt 0x0
	s_add_nc_u64 s[0:1], s[10:11], 8
	s_mov_b32 s17, 0
.LBB3_1018:                             ;   in Loop: Header=BB3_998 Depth=2
	global_load_b64 v[8:9], v53, s[10:11]
	s_add_co_i32 s17, s18, -8
.LBB3_1019:                             ;   in Loop: Header=BB3_998 Depth=2
	s_delay_alu instid0(SALU_CYCLE_1)
	s_cmp_gt_u32 s17, 7
	s_cbranch_scc1 .LBB3_1024
; %bb.1020:                             ;   in Loop: Header=BB3_998 Depth=2
	v_mov_b64_e32 v[10:11], 0
	s_cmp_eq_u32 s17, 0
	s_cbranch_scc1 .LBB3_1023
; %bb.1021:                             ;   in Loop: Header=BB3_998 Depth=2
	s_wait_xcnt 0x0
	s_mov_b64 s[10:11], 0
	s_mov_b64 s[12:13], 0
.LBB3_1022:                             ;   Parent Loop BB3_3 Depth=1
                                        ;     Parent Loop BB3_998 Depth=2
                                        ; =>    This Inner Loop Header: Depth=3
	s_wait_xcnt 0x0
	s_add_nc_u64 s[18:19], s[0:1], s[12:13]
	s_add_nc_u64 s[12:13], s[12:13], 1
	global_load_u8 v12, v53, s[18:19]
	s_cmp_lg_u32 s17, s12
	s_wait_loadcnt 0x0
	v_and_b32_e32 v52, 0xffff, v12
	s_delay_alu instid0(VALU_DEP_1) | instskip(SKIP_1) | instid1(VALU_DEP_1)
	v_lshlrev_b64_e32 v[12:13], s10, v[52:53]
	s_add_nc_u64 s[10:11], s[10:11], 8
	v_or_b32_e32 v10, v12, v10
	s_delay_alu instid0(VALU_DEP_2)
	v_or_b32_e32 v11, v13, v11
	s_cbranch_scc1 .LBB3_1022
.LBB3_1023:                             ;   in Loop: Header=BB3_998 Depth=2
	s_wait_xcnt 0x0
	s_mov_b64 s[10:11], s[0:1]
	s_mov_b32 s18, 0
	s_cbranch_execz .LBB3_1025
	s_branch .LBB3_1026
.LBB3_1024:                             ;   in Loop: Header=BB3_998 Depth=2
	s_wait_xcnt 0x0
	s_add_nc_u64 s[10:11], s[0:1], 8
                                        ; implicit-def: $vgpr10_vgpr11
	s_mov_b32 s18, 0
.LBB3_1025:                             ;   in Loop: Header=BB3_998 Depth=2
	global_load_b64 v[10:11], v53, s[0:1]
	s_add_co_i32 s18, s17, -8
.LBB3_1026:                             ;   in Loop: Header=BB3_998 Depth=2
	s_delay_alu instid0(SALU_CYCLE_1)
	s_cmp_gt_u32 s18, 7
	s_cbranch_scc1 .LBB3_1031
; %bb.1027:                             ;   in Loop: Header=BB3_998 Depth=2
	v_mov_b64_e32 v[12:13], 0
	s_cmp_eq_u32 s18, 0
	s_cbranch_scc1 .LBB3_1030
; %bb.1028:                             ;   in Loop: Header=BB3_998 Depth=2
	s_wait_xcnt 0x0
	s_mov_b64 s[0:1], 0
	s_mov_b64 s[12:13], 0
.LBB3_1029:                             ;   Parent Loop BB3_3 Depth=1
                                        ;     Parent Loop BB3_998 Depth=2
                                        ; =>    This Inner Loop Header: Depth=3
	s_wait_xcnt 0x0
	s_add_nc_u64 s[30:31], s[10:11], s[12:13]
	s_add_nc_u64 s[12:13], s[12:13], 1
	global_load_u8 v14, v53, s[30:31]
	s_cmp_lg_u32 s18, s12
	s_wait_loadcnt 0x0
	v_and_b32_e32 v52, 0xffff, v14
	s_delay_alu instid0(VALU_DEP_1) | instskip(SKIP_1) | instid1(VALU_DEP_1)
	v_lshlrev_b64_e32 v[14:15], s0, v[52:53]
	s_add_nc_u64 s[0:1], s[0:1], 8
	v_or_b32_e32 v12, v14, v12
	s_delay_alu instid0(VALU_DEP_2)
	v_or_b32_e32 v13, v15, v13
	s_cbranch_scc1 .LBB3_1029
.LBB3_1030:                             ;   in Loop: Header=BB3_998 Depth=2
	s_wait_xcnt 0x0
	s_mov_b64 s[0:1], s[10:11]
	s_mov_b32 s17, 0
	s_cbranch_execz .LBB3_1032
	s_branch .LBB3_1033
.LBB3_1031:                             ;   in Loop: Header=BB3_998 Depth=2
	s_wait_xcnt 0x0
	s_add_nc_u64 s[0:1], s[10:11], 8
	s_mov_b32 s17, 0
.LBB3_1032:                             ;   in Loop: Header=BB3_998 Depth=2
	global_load_b64 v[12:13], v53, s[10:11]
	s_add_co_i32 s17, s18, -8
.LBB3_1033:                             ;   in Loop: Header=BB3_998 Depth=2
	s_delay_alu instid0(SALU_CYCLE_1)
	s_cmp_gt_u32 s17, 7
	s_cbranch_scc1 .LBB3_1038
; %bb.1034:                             ;   in Loop: Header=BB3_998 Depth=2
	v_mov_b64_e32 v[14:15], 0
	s_cmp_eq_u32 s17, 0
	s_cbranch_scc1 .LBB3_1037
; %bb.1035:                             ;   in Loop: Header=BB3_998 Depth=2
	s_wait_xcnt 0x0
	s_mov_b64 s[10:11], 0
	s_mov_b64 s[12:13], 0
.LBB3_1036:                             ;   Parent Loop BB3_3 Depth=1
                                        ;     Parent Loop BB3_998 Depth=2
                                        ; =>    This Inner Loop Header: Depth=3
	s_wait_xcnt 0x0
	s_add_nc_u64 s[18:19], s[0:1], s[12:13]
	s_add_nc_u64 s[12:13], s[12:13], 1
	global_load_u8 v16, v53, s[18:19]
	s_cmp_lg_u32 s17, s12
	s_wait_loadcnt 0x0
	v_and_b32_e32 v52, 0xffff, v16
	s_delay_alu instid0(VALU_DEP_1) | instskip(SKIP_1) | instid1(VALU_DEP_1)
	v_lshlrev_b64_e32 v[16:17], s10, v[52:53]
	s_add_nc_u64 s[10:11], s[10:11], 8
	v_or_b32_e32 v14, v16, v14
	s_delay_alu instid0(VALU_DEP_2)
	v_or_b32_e32 v15, v17, v15
	s_cbranch_scc1 .LBB3_1036
.LBB3_1037:                             ;   in Loop: Header=BB3_998 Depth=2
	s_wait_xcnt 0x0
	s_mov_b64 s[10:11], s[0:1]
	s_mov_b32 s18, 0
	s_cbranch_execz .LBB3_1039
	s_branch .LBB3_1040
.LBB3_1038:                             ;   in Loop: Header=BB3_998 Depth=2
	s_wait_xcnt 0x0
	s_add_nc_u64 s[10:11], s[0:1], 8
                                        ; implicit-def: $vgpr14_vgpr15
	s_mov_b32 s18, 0
.LBB3_1039:                             ;   in Loop: Header=BB3_998 Depth=2
	global_load_b64 v[14:15], v53, s[0:1]
	s_add_co_i32 s18, s17, -8
.LBB3_1040:                             ;   in Loop: Header=BB3_998 Depth=2
	s_delay_alu instid0(SALU_CYCLE_1)
	s_cmp_gt_u32 s18, 7
	s_cbranch_scc1 .LBB3_1045
; %bb.1041:                             ;   in Loop: Header=BB3_998 Depth=2
	v_mov_b64_e32 v[16:17], 0
	s_cmp_eq_u32 s18, 0
	s_cbranch_scc1 .LBB3_1044
; %bb.1042:                             ;   in Loop: Header=BB3_998 Depth=2
	s_wait_xcnt 0x0
	s_mov_b64 s[0:1], 0
	s_mov_b64 s[12:13], s[10:11]
.LBB3_1043:                             ;   Parent Loop BB3_3 Depth=1
                                        ;     Parent Loop BB3_998 Depth=2
                                        ; =>    This Inner Loop Header: Depth=3
	global_load_u8 v18, v53, s[12:13]
	s_add_co_i32 s18, s18, -1
	s_wait_xcnt 0x0
	s_add_nc_u64 s[12:13], s[12:13], 1
	s_cmp_lg_u32 s18, 0
	s_wait_loadcnt 0x0
	v_and_b32_e32 v52, 0xffff, v18
	s_delay_alu instid0(VALU_DEP_1) | instskip(SKIP_1) | instid1(VALU_DEP_1)
	v_lshlrev_b64_e32 v[18:19], s0, v[52:53]
	s_add_nc_u64 s[0:1], s[0:1], 8
	v_or_b32_e32 v16, v18, v16
	s_delay_alu instid0(VALU_DEP_2)
	v_or_b32_e32 v17, v19, v17
	s_cbranch_scc1 .LBB3_1043
.LBB3_1044:                             ;   in Loop: Header=BB3_998 Depth=2
	s_wait_xcnt 0x0
	s_cbranch_execz .LBB3_1046
	s_branch .LBB3_1047
.LBB3_1045:                             ;   in Loop: Header=BB3_998 Depth=2
	s_wait_xcnt 0x0
.LBB3_1046:                             ;   in Loop: Header=BB3_998 Depth=2
	global_load_b64 v[16:17], v53, s[10:11]
.LBB3_1047:                             ;   in Loop: Header=BB3_998 Depth=2
	v_readfirstlane_b32 s0, v80
	v_mov_b64_e32 v[26:27], 0
	s_delay_alu instid0(VALU_DEP_2)
	v_cmp_eq_u32_e64 s0, s0, v80
	s_wait_xcnt 0x0
	s_and_saveexec_b32 s1, s0
	s_cbranch_execz .LBB3_1053
; %bb.1048:                             ;   in Loop: Header=BB3_998 Depth=2
	global_load_b64 v[20:21], v53, s[2:3] offset:24 scope:SCOPE_SYS
	s_wait_loadcnt 0x0
	global_inv scope:SCOPE_SYS
	s_clause 0x1
	global_load_b64 v[18:19], v53, s[2:3] offset:40
	global_load_b64 v[26:27], v53, s[2:3]
	s_mov_b32 s10, exec_lo
	s_wait_loadcnt 0x1
	v_and_b32_e32 v18, v18, v20
	v_and_b32_e32 v19, v19, v21
	s_delay_alu instid0(VALU_DEP_1) | instskip(SKIP_1) | instid1(VALU_DEP_1)
	v_mul_u64_e32 v[18:19], 24, v[18:19]
	s_wait_loadcnt 0x0
	v_add_nc_u64_e32 v[18:19], v[26:27], v[18:19]
	global_load_b64 v[18:19], v[18:19], off scope:SCOPE_SYS
	s_wait_xcnt 0x0
	s_wait_loadcnt 0x0
	global_atomic_cmpswap_b64 v[26:27], v53, v[18:21], s[2:3] offset:24 th:TH_ATOMIC_RETURN scope:SCOPE_SYS
	s_wait_loadcnt 0x0
	global_inv scope:SCOPE_SYS
	s_wait_xcnt 0x0
	v_cmpx_ne_u64_e64 v[26:27], v[20:21]
	s_cbranch_execz .LBB3_1052
; %bb.1049:                             ;   in Loop: Header=BB3_998 Depth=2
	s_mov_b32 s11, 0
.LBB3_1050:                             ;   Parent Loop BB3_3 Depth=1
                                        ;     Parent Loop BB3_998 Depth=2
                                        ; =>    This Inner Loop Header: Depth=3
	s_sleep 1
	s_clause 0x1
	global_load_b64 v[18:19], v53, s[2:3] offset:40
	global_load_b64 v[28:29], v53, s[2:3]
	v_mov_b64_e32 v[20:21], v[26:27]
	s_wait_loadcnt 0x1
	s_delay_alu instid0(VALU_DEP_1) | instskip(SKIP_1) | instid1(VALU_DEP_1)
	v_and_b32_e32 v18, v18, v20
	s_wait_loadcnt 0x0
	v_mad_nc_u64_u32 v[26:27], v18, 24, v[28:29]
	s_delay_alu instid0(VALU_DEP_3) | instskip(NEXT) | instid1(VALU_DEP_1)
	v_and_b32_e32 v18, v19, v21
	v_mad_u32 v27, v18, 24, v27
	global_load_b64 v[18:19], v[26:27], off scope:SCOPE_SYS
	s_wait_xcnt 0x0
	s_wait_loadcnt 0x0
	global_atomic_cmpswap_b64 v[26:27], v53, v[18:21], s[2:3] offset:24 th:TH_ATOMIC_RETURN scope:SCOPE_SYS
	s_wait_loadcnt 0x0
	global_inv scope:SCOPE_SYS
	v_cmp_eq_u64_e32 vcc_lo, v[26:27], v[20:21]
	s_or_b32 s11, vcc_lo, s11
	s_wait_xcnt 0x0
	s_and_not1_b32 exec_lo, exec_lo, s11
	s_cbranch_execnz .LBB3_1050
; %bb.1051:                             ;   in Loop: Header=BB3_998 Depth=2
	s_or_b32 exec_lo, exec_lo, s11
.LBB3_1052:                             ;   in Loop: Header=BB3_998 Depth=2
	s_delay_alu instid0(SALU_CYCLE_1)
	s_or_b32 exec_lo, exec_lo, s10
.LBB3_1053:                             ;   in Loop: Header=BB3_998 Depth=2
	s_delay_alu instid0(SALU_CYCLE_1)
	s_or_b32 exec_lo, exec_lo, s1
	s_clause 0x1
	global_load_b64 v[28:29], v53, s[2:3] offset:40
	global_load_b128 v[18:21], v53, s[2:3]
	v_readfirstlane_b32 s10, v26
	v_readfirstlane_b32 s11, v27
	s_mov_b32 s1, exec_lo
	s_wait_loadcnt 0x1
	v_and_b32_e32 v28, s10, v28
	v_and_b32_e32 v29, s11, v29
	s_delay_alu instid0(VALU_DEP_1) | instskip(SKIP_1) | instid1(VALU_DEP_1)
	v_mul_u64_e32 v[26:27], 24, v[28:29]
	s_wait_loadcnt 0x0
	v_add_nc_u64_e32 v[26:27], v[18:19], v[26:27]
	s_wait_xcnt 0x0
	s_and_saveexec_b32 s12, s0
	s_cbranch_execz .LBB3_1055
; %bb.1054:                             ;   in Loop: Header=BB3_998 Depth=2
	v_mov_b32_e32 v52, s1
	global_store_b128 v[26:27], v[52:55], off offset:8
.LBB3_1055:                             ;   in Loop: Header=BB3_998 Depth=2
	s_wait_xcnt 0x0
	s_or_b32 exec_lo, exec_lo, s12
	v_cmp_lt_u64_e64 vcc_lo, s[4:5], 57
	v_lshlrev_b64_e32 v[28:29], 12, v[28:29]
	v_and_b32_e32 v2, 0xffffff1f, v2
	s_lshl_b32 s1, s8, 2
	s_delay_alu instid0(SALU_CYCLE_1) | instskip(SKIP_1) | instid1(VALU_DEP_3)
	s_add_co_i32 s1, s1, 28
	v_cndmask_b32_e32 v23, 0, v24, vcc_lo
	v_add_nc_u64_e32 v[20:21], v[20:21], v[28:29]
	s_delay_alu instid0(VALU_DEP_2) | instskip(NEXT) | instid1(VALU_DEP_2)
	v_or_b32_e32 v2, v2, v23
	v_readfirstlane_b32 s12, v20
	s_delay_alu instid0(VALU_DEP_3) | instskip(NEXT) | instid1(VALU_DEP_3)
	v_readfirstlane_b32 s13, v21
	v_and_or_b32 v2, 0x1e0, s1, v2
	s_clause 0x3
	global_store_b128 v22, v[2:5], s[12:13]
	global_store_b128 v22, v[6:9], s[12:13] offset:16
	global_store_b128 v22, v[10:13], s[12:13] offset:32
	global_store_b128 v22, v[14:17], s[12:13] offset:48
	s_wait_xcnt 0x0
	s_and_saveexec_b32 s1, s0
	s_cbranch_execz .LBB3_1063
; %bb.1056:                             ;   in Loop: Header=BB3_998 Depth=2
	s_clause 0x1
	global_load_b64 v[10:11], v53, s[2:3] offset:32 scope:SCOPE_SYS
	global_load_b64 v[2:3], v53, s[2:3] offset:40
	s_mov_b32 s12, exec_lo
	v_dual_mov_b32 v8, s10 :: v_dual_mov_b32 v9, s11
	s_wait_loadcnt 0x0
	v_and_b32_e32 v3, s11, v3
	v_and_b32_e32 v2, s10, v2
	s_delay_alu instid0(VALU_DEP_1) | instskip(NEXT) | instid1(VALU_DEP_1)
	v_mul_u64_e32 v[2:3], 24, v[2:3]
	v_add_nc_u64_e32 v[6:7], v[18:19], v[2:3]
	global_store_b64 v[6:7], v[10:11], off
	global_wb scope:SCOPE_SYS
	s_wait_storecnt 0x0
	s_wait_xcnt 0x0
	global_atomic_cmpswap_b64 v[4:5], v53, v[8:11], s[2:3] offset:32 th:TH_ATOMIC_RETURN scope:SCOPE_SYS
	s_wait_loadcnt 0x0
	v_cmpx_ne_u64_e64 v[4:5], v[10:11]
	s_cbranch_execz .LBB3_1059
; %bb.1057:                             ;   in Loop: Header=BB3_998 Depth=2
	s_mov_b32 s13, 0
.LBB3_1058:                             ;   Parent Loop BB3_3 Depth=1
                                        ;     Parent Loop BB3_998 Depth=2
                                        ; =>    This Inner Loop Header: Depth=3
	v_dual_mov_b32 v2, s10 :: v_dual_mov_b32 v3, s11
	s_sleep 1
	global_store_b64 v[6:7], v[4:5], off
	global_wb scope:SCOPE_SYS
	s_wait_storecnt 0x0
	s_wait_xcnt 0x0
	global_atomic_cmpswap_b64 v[2:3], v53, v[2:5], s[2:3] offset:32 th:TH_ATOMIC_RETURN scope:SCOPE_SYS
	s_wait_loadcnt 0x0
	v_cmp_eq_u64_e32 vcc_lo, v[2:3], v[4:5]
	v_mov_b64_e32 v[4:5], v[2:3]
	s_or_b32 s13, vcc_lo, s13
	s_delay_alu instid0(SALU_CYCLE_1)
	s_and_not1_b32 exec_lo, exec_lo, s13
	s_cbranch_execnz .LBB3_1058
.LBB3_1059:                             ;   in Loop: Header=BB3_998 Depth=2
	s_or_b32 exec_lo, exec_lo, s12
	global_load_b64 v[2:3], v53, s[2:3] offset:16
	s_mov_b32 s13, exec_lo
	s_mov_b32 s12, exec_lo
	v_mbcnt_lo_u32_b32 v4, s13, 0
	s_wait_xcnt 0x0
	s_delay_alu instid0(VALU_DEP_1)
	v_cmpx_eq_u32_e32 0, v4
	s_cbranch_execz .LBB3_1061
; %bb.1060:                             ;   in Loop: Header=BB3_998 Depth=2
	s_bcnt1_i32_b32 s13, s13
	s_delay_alu instid0(SALU_CYCLE_1)
	v_mov_b32_e32 v52, s13
	global_wb scope:SCOPE_SYS
	s_wait_loadcnt 0x0
	s_wait_storecnt 0x0
	global_atomic_add_u64 v[2:3], v[52:53], off offset:8 scope:SCOPE_SYS
.LBB3_1061:                             ;   in Loop: Header=BB3_998 Depth=2
	s_wait_xcnt 0x0
	s_or_b32 exec_lo, exec_lo, s12
	s_wait_loadcnt 0x0
	global_load_b64 v[4:5], v[2:3], off offset:16
	s_wait_loadcnt 0x0
	v_cmp_eq_u64_e32 vcc_lo, 0, v[4:5]
	s_cbranch_vccnz .LBB3_1063
; %bb.1062:                             ;   in Loop: Header=BB3_998 Depth=2
	global_load_b32 v52, v[2:3], off offset:24
	s_wait_loadcnt 0x0
	v_readfirstlane_b32 s12, v52
	global_wb scope:SCOPE_SYS
	s_wait_storecnt 0x0
	s_wait_xcnt 0x0
	global_store_b64 v[4:5], v[52:53], off scope:SCOPE_SYS
	s_and_b32 m0, s12, 0xffffff
	s_sendmsg sendmsg(MSG_INTERRUPT)
.LBB3_1063:                             ;   in Loop: Header=BB3_998 Depth=2
	s_wait_xcnt 0x0
	s_or_b32 exec_lo, exec_lo, s1
	v_mov_b32_e32 v23, v53
	s_delay_alu instid0(VALU_DEP_1)
	v_add_nc_u64_e32 v[2:3], v[20:21], v[22:23]
	s_branch .LBB3_1067
.LBB3_1064:                             ;   in Loop: Header=BB3_1067 Depth=3
	s_wait_xcnt 0x0
	s_or_b32 exec_lo, exec_lo, s1
	s_delay_alu instid0(VALU_DEP_1)
	v_readfirstlane_b32 s1, v4
	s_cmp_eq_u32 s1, 0
	s_cbranch_scc1 .LBB3_1066
; %bb.1065:                             ;   in Loop: Header=BB3_1067 Depth=3
	s_sleep 1
	s_cbranch_execnz .LBB3_1067
	s_branch .LBB3_1069
.LBB3_1066:                             ;   in Loop: Header=BB3_998 Depth=2
	s_branch .LBB3_1069
.LBB3_1067:                             ;   Parent Loop BB3_3 Depth=1
                                        ;     Parent Loop BB3_998 Depth=2
                                        ; =>    This Inner Loop Header: Depth=3
	v_mov_b32_e32 v4, 1
	s_and_saveexec_b32 s1, s0
	s_cbranch_execz .LBB3_1064
; %bb.1068:                             ;   in Loop: Header=BB3_1067 Depth=3
	global_load_b32 v4, v[26:27], off offset:20 scope:SCOPE_SYS
	s_wait_loadcnt 0x0
	global_inv scope:SCOPE_SYS
	v_and_b32_e32 v4, 1, v4
	s_branch .LBB3_1064
.LBB3_1069:                             ;   in Loop: Header=BB3_998 Depth=2
	global_load_b64 v[2:3], v[2:3], off
	s_wait_xcnt 0x0
	s_and_saveexec_b32 s12, s0
	s_cbranch_execz .LBB3_997
; %bb.1070:                             ;   in Loop: Header=BB3_998 Depth=2
	s_clause 0x2
	global_load_b64 v[4:5], v53, s[2:3] offset:40
	global_load_b64 v[12:13], v53, s[2:3] offset:24 scope:SCOPE_SYS
	global_load_b64 v[6:7], v53, s[2:3]
	s_wait_loadcnt 0x2
	v_readfirstlane_b32 s18, v4
	v_readfirstlane_b32 s19, v5
	s_add_nc_u64 s[0:1], s[18:19], 1
	s_delay_alu instid0(SALU_CYCLE_1) | instskip(NEXT) | instid1(SALU_CYCLE_1)
	s_add_nc_u64 s[10:11], s[0:1], s[10:11]
	s_cmp_eq_u64 s[10:11], 0
	s_cselect_b32 s1, s1, s11
	s_cselect_b32 s0, s0, s10
	s_delay_alu instid0(SALU_CYCLE_1) | instskip(SKIP_1) | instid1(SALU_CYCLE_1)
	v_dual_mov_b32 v11, s1 :: v_dual_mov_b32 v10, s0
	s_and_b64 s[10:11], s[0:1], s[18:19]
	s_mul_u64 s[10:11], s[10:11], 24
	s_wait_loadcnt 0x0
	v_add_nc_u64_e32 v[8:9], s[10:11], v[6:7]
	global_store_b64 v[8:9], v[12:13], off
	global_wb scope:SCOPE_SYS
	s_wait_storecnt 0x0
	s_wait_xcnt 0x0
	global_atomic_cmpswap_b64 v[6:7], v53, v[10:13], s[2:3] offset:24 th:TH_ATOMIC_RETURN scope:SCOPE_SYS
	s_wait_loadcnt 0x0
	v_cmp_ne_u64_e32 vcc_lo, v[6:7], v[12:13]
	s_and_b32 exec_lo, exec_lo, vcc_lo
	s_cbranch_execz .LBB3_997
; %bb.1071:                             ;   in Loop: Header=BB3_998 Depth=2
	s_mov_b32 s10, 0
.LBB3_1072:                             ;   Parent Loop BB3_3 Depth=1
                                        ;     Parent Loop BB3_998 Depth=2
                                        ; =>    This Inner Loop Header: Depth=3
	v_dual_mov_b32 v4, s0 :: v_dual_mov_b32 v5, s1
	s_sleep 1
	global_store_b64 v[8:9], v[6:7], off
	global_wb scope:SCOPE_SYS
	s_wait_storecnt 0x0
	s_wait_xcnt 0x0
	global_atomic_cmpswap_b64 v[4:5], v53, v[4:7], s[2:3] offset:24 th:TH_ATOMIC_RETURN scope:SCOPE_SYS
	s_wait_loadcnt 0x0
	v_cmp_eq_u64_e32 vcc_lo, v[4:5], v[6:7]
	v_mov_b64_e32 v[6:7], v[4:5]
	s_or_b32 s10, vcc_lo, s10
	s_delay_alu instid0(SALU_CYCLE_1)
	s_and_not1_b32 exec_lo, exec_lo, s10
	s_cbranch_execnz .LBB3_1072
	s_branch .LBB3_997
.LBB3_1073:                             ;   in Loop: Header=BB3_3 Depth=1
	s_branch .LBB3_1103
.LBB3_1074:                             ;   in Loop: Header=BB3_3 Depth=1
	s_branch .LBB3_1210
.LBB3_1075:                             ;   in Loop: Header=BB3_3 Depth=1
                                        ; implicit-def: $vgpr2_vgpr3
	s_cbranch_execz .LBB3_1103
; %bb.1076:                             ;   in Loop: Header=BB3_3 Depth=1
	v_readfirstlane_b32 s0, v80
	s_wait_loadcnt 0x0
	v_mov_b64_e32 v[2:3], 0
	s_delay_alu instid0(VALU_DEP_2)
	v_cmp_eq_u32_e64 s0, s0, v80
	s_and_saveexec_b32 s1, s0
	s_cbranch_execz .LBB3_1082
; %bb.1077:                             ;   in Loop: Header=BB3_3 Depth=1
	global_load_b64 v[4:5], v53, s[2:3] offset:24 scope:SCOPE_SYS
	s_wait_loadcnt 0x0
	global_inv scope:SCOPE_SYS
	s_clause 0x1
	global_load_b64 v[2:3], v53, s[2:3] offset:40
	global_load_b64 v[6:7], v53, s[2:3]
	s_mov_b32 s4, exec_lo
	s_wait_loadcnt 0x1
	v_and_b32_e32 v2, v2, v4
	v_and_b32_e32 v3, v3, v5
	s_delay_alu instid0(VALU_DEP_1) | instskip(SKIP_1) | instid1(VALU_DEP_1)
	v_mul_u64_e32 v[2:3], 24, v[2:3]
	s_wait_loadcnt 0x0
	v_add_nc_u64_e32 v[2:3], v[6:7], v[2:3]
	global_load_b64 v[2:3], v[2:3], off scope:SCOPE_SYS
	s_wait_xcnt 0x0
	s_wait_loadcnt 0x0
	global_atomic_cmpswap_b64 v[2:3], v53, v[2:5], s[2:3] offset:24 th:TH_ATOMIC_RETURN scope:SCOPE_SYS
	s_wait_loadcnt 0x0
	global_inv scope:SCOPE_SYS
	s_wait_xcnt 0x0
	v_cmpx_ne_u64_e64 v[2:3], v[4:5]
	s_cbranch_execz .LBB3_1081
; %bb.1078:                             ;   in Loop: Header=BB3_3 Depth=1
	s_mov_b32 s5, 0
.LBB3_1079:                             ;   Parent Loop BB3_3 Depth=1
                                        ; =>  This Inner Loop Header: Depth=2
	s_sleep 1
	s_clause 0x1
	global_load_b64 v[6:7], v53, s[2:3] offset:40
	global_load_b64 v[8:9], v53, s[2:3]
	v_mov_b64_e32 v[4:5], v[2:3]
	s_wait_loadcnt 0x1
	s_delay_alu instid0(VALU_DEP_1) | instskip(NEXT) | instid1(VALU_DEP_2)
	v_and_b32_e32 v2, v6, v4
	v_and_b32_e32 v6, v7, v5
	s_wait_loadcnt 0x0
	s_delay_alu instid0(VALU_DEP_2) | instskip(NEXT) | instid1(VALU_DEP_1)
	v_mad_nc_u64_u32 v[2:3], v2, 24, v[8:9]
	v_mad_u32 v3, v6, 24, v3
	global_load_b64 v[2:3], v[2:3], off scope:SCOPE_SYS
	s_wait_xcnt 0x0
	s_wait_loadcnt 0x0
	global_atomic_cmpswap_b64 v[2:3], v53, v[2:5], s[2:3] offset:24 th:TH_ATOMIC_RETURN scope:SCOPE_SYS
	s_wait_loadcnt 0x0
	global_inv scope:SCOPE_SYS
	v_cmp_eq_u64_e32 vcc_lo, v[2:3], v[4:5]
	s_or_b32 s5, vcc_lo, s5
	s_wait_xcnt 0x0
	s_and_not1_b32 exec_lo, exec_lo, s5
	s_cbranch_execnz .LBB3_1079
; %bb.1080:                             ;   in Loop: Header=BB3_3 Depth=1
	s_or_b32 exec_lo, exec_lo, s5
.LBB3_1081:                             ;   in Loop: Header=BB3_3 Depth=1
	s_delay_alu instid0(SALU_CYCLE_1)
	s_or_b32 exec_lo, exec_lo, s4
.LBB3_1082:                             ;   in Loop: Header=BB3_3 Depth=1
	s_delay_alu instid0(SALU_CYCLE_1)
	s_or_b32 exec_lo, exec_lo, s1
	s_clause 0x1
	global_load_b64 v[8:9], v53, s[2:3] offset:40
	global_load_b128 v[4:7], v53, s[2:3]
	v_readfirstlane_b32 s4, v2
	v_readfirstlane_b32 s5, v3
	s_mov_b32 s1, exec_lo
	s_wait_loadcnt 0x1
	v_and_b32_e32 v2, s4, v8
	v_and_b32_e32 v3, s5, v9
	s_delay_alu instid0(VALU_DEP_1) | instskip(SKIP_1) | instid1(VALU_DEP_1)
	v_mul_u64_e32 v[8:9], 24, v[2:3]
	s_wait_loadcnt 0x0
	v_add_nc_u64_e32 v[8:9], v[4:5], v[8:9]
	s_wait_xcnt 0x0
	s_and_saveexec_b32 s6, s0
	s_cbranch_execz .LBB3_1084
; %bb.1083:                             ;   in Loop: Header=BB3_3 Depth=1
	v_mov_b32_e32 v52, s1
	global_store_b128 v[8:9], v[52:55], off offset:8
.LBB3_1084:                             ;   in Loop: Header=BB3_3 Depth=1
	s_wait_xcnt 0x0
	s_or_b32 exec_lo, exec_lo, s6
	v_lshlrev_b64_e32 v[2:3], 12, v[2:3]
	s_mov_b32 s17, s16
	s_mov_b32 s18, s16
	;; [unrolled: 1-line block ×3, first 2 shown]
	v_mov_b64_e32 v[10:11], s[16:17]
	v_mov_b64_e32 v[12:13], s[18:19]
	v_and_or_b32 v0, 0xffffff1f, v0, 32
	v_add_nc_u64_e32 v[6:7], v[6:7], v[2:3]
	v_dual_mov_b32 v2, v53 :: v_dual_mov_b32 v3, v53
	s_delay_alu instid0(VALU_DEP_2) | instskip(NEXT) | instid1(VALU_DEP_3)
	v_readfirstlane_b32 s6, v6
	v_readfirstlane_b32 s7, v7
	s_clause 0x3
	global_store_b128 v22, v[0:3], s[6:7]
	global_store_b128 v22, v[10:13], s[6:7] offset:16
	global_store_b128 v22, v[10:13], s[6:7] offset:32
	;; [unrolled: 1-line block ×3, first 2 shown]
	s_wait_xcnt 0x0
	s_and_saveexec_b32 s1, s0
	s_cbranch_execz .LBB3_1092
; %bb.1085:                             ;   in Loop: Header=BB3_3 Depth=1
	s_clause 0x1
	global_load_b64 v[12:13], v53, s[2:3] offset:32 scope:SCOPE_SYS
	global_load_b64 v[0:1], v53, s[2:3] offset:40
	s_mov_b32 s6, exec_lo
	v_dual_mov_b32 v10, s4 :: v_dual_mov_b32 v11, s5
	s_wait_loadcnt 0x0
	v_and_b32_e32 v1, s5, v1
	v_and_b32_e32 v0, s4, v0
	s_delay_alu instid0(VALU_DEP_1) | instskip(NEXT) | instid1(VALU_DEP_1)
	v_mul_u64_e32 v[0:1], 24, v[0:1]
	v_add_nc_u64_e32 v[4:5], v[4:5], v[0:1]
	global_store_b64 v[4:5], v[12:13], off
	global_wb scope:SCOPE_SYS
	s_wait_storecnt 0x0
	s_wait_xcnt 0x0
	global_atomic_cmpswap_b64 v[2:3], v53, v[10:13], s[2:3] offset:32 th:TH_ATOMIC_RETURN scope:SCOPE_SYS
	s_wait_loadcnt 0x0
	v_cmpx_ne_u64_e64 v[2:3], v[12:13]
	s_cbranch_execz .LBB3_1088
; %bb.1086:                             ;   in Loop: Header=BB3_3 Depth=1
	s_mov_b32 s7, 0
.LBB3_1087:                             ;   Parent Loop BB3_3 Depth=1
                                        ; =>  This Inner Loop Header: Depth=2
	v_dual_mov_b32 v0, s4 :: v_dual_mov_b32 v1, s5
	s_sleep 1
	global_store_b64 v[4:5], v[2:3], off
	global_wb scope:SCOPE_SYS
	s_wait_storecnt 0x0
	s_wait_xcnt 0x0
	global_atomic_cmpswap_b64 v[0:1], v53, v[0:3], s[2:3] offset:32 th:TH_ATOMIC_RETURN scope:SCOPE_SYS
	s_wait_loadcnt 0x0
	v_cmp_eq_u64_e32 vcc_lo, v[0:1], v[2:3]
	v_mov_b64_e32 v[2:3], v[0:1]
	s_or_b32 s7, vcc_lo, s7
	s_delay_alu instid0(SALU_CYCLE_1)
	s_and_not1_b32 exec_lo, exec_lo, s7
	s_cbranch_execnz .LBB3_1087
.LBB3_1088:                             ;   in Loop: Header=BB3_3 Depth=1
	s_or_b32 exec_lo, exec_lo, s6
	global_load_b64 v[0:1], v53, s[2:3] offset:16
	s_mov_b32 s7, exec_lo
	s_mov_b32 s6, exec_lo
	v_mbcnt_lo_u32_b32 v2, s7, 0
	s_wait_xcnt 0x0
	s_delay_alu instid0(VALU_DEP_1)
	v_cmpx_eq_u32_e32 0, v2
	s_cbranch_execz .LBB3_1090
; %bb.1089:                             ;   in Loop: Header=BB3_3 Depth=1
	s_bcnt1_i32_b32 s7, s7
	s_delay_alu instid0(SALU_CYCLE_1)
	v_mov_b32_e32 v52, s7
	global_wb scope:SCOPE_SYS
	s_wait_loadcnt 0x0
	s_wait_storecnt 0x0
	global_atomic_add_u64 v[0:1], v[52:53], off offset:8 scope:SCOPE_SYS
.LBB3_1090:                             ;   in Loop: Header=BB3_3 Depth=1
	s_wait_xcnt 0x0
	s_or_b32 exec_lo, exec_lo, s6
	s_wait_loadcnt 0x0
	global_load_b64 v[2:3], v[0:1], off offset:16
	s_wait_loadcnt 0x0
	v_cmp_eq_u64_e32 vcc_lo, 0, v[2:3]
	s_cbranch_vccnz .LBB3_1092
; %bb.1091:                             ;   in Loop: Header=BB3_3 Depth=1
	global_load_b32 v52, v[0:1], off offset:24
	s_wait_loadcnt 0x0
	v_readfirstlane_b32 s6, v52
	global_wb scope:SCOPE_SYS
	s_wait_storecnt 0x0
	s_wait_xcnt 0x0
	global_store_b64 v[2:3], v[52:53], off scope:SCOPE_SYS
	s_and_b32 m0, s6, 0xffffff
	s_sendmsg sendmsg(MSG_INTERRUPT)
.LBB3_1092:                             ;   in Loop: Header=BB3_3 Depth=1
	s_wait_xcnt 0x0
	s_or_b32 exec_lo, exec_lo, s1
	v_mov_b32_e32 v23, v53
	s_delay_alu instid0(VALU_DEP_1)
	v_add_nc_u64_e32 v[0:1], v[6:7], v[22:23]
	s_branch .LBB3_1096
.LBB3_1093:                             ;   in Loop: Header=BB3_1096 Depth=2
	s_wait_xcnt 0x0
	s_or_b32 exec_lo, exec_lo, s1
	s_delay_alu instid0(VALU_DEP_1)
	v_readfirstlane_b32 s1, v2
	s_cmp_eq_u32 s1, 0
	s_cbranch_scc1 .LBB3_1095
; %bb.1094:                             ;   in Loop: Header=BB3_1096 Depth=2
	s_sleep 1
	s_cbranch_execnz .LBB3_1096
	s_branch .LBB3_1098
.LBB3_1095:                             ;   in Loop: Header=BB3_3 Depth=1
	s_branch .LBB3_1098
.LBB3_1096:                             ;   Parent Loop BB3_3 Depth=1
                                        ; =>  This Inner Loop Header: Depth=2
	v_mov_b32_e32 v2, 1
	s_and_saveexec_b32 s1, s0
	s_cbranch_execz .LBB3_1093
; %bb.1097:                             ;   in Loop: Header=BB3_1096 Depth=2
	global_load_b32 v2, v[8:9], off offset:20 scope:SCOPE_SYS
	s_wait_loadcnt 0x0
	global_inv scope:SCOPE_SYS
	v_and_b32_e32 v2, 1, v2
	s_branch .LBB3_1093
.LBB3_1098:                             ;   in Loop: Header=BB3_3 Depth=1
	global_load_b64 v[2:3], v[0:1], off
	s_wait_xcnt 0x0
	s_and_saveexec_b32 s6, s0
	s_cbranch_execz .LBB3_1102
; %bb.1099:                             ;   in Loop: Header=BB3_3 Depth=1
	s_clause 0x2
	global_load_b64 v[0:1], v53, s[2:3] offset:40
	global_load_b64 v[8:9], v53, s[2:3] offset:24 scope:SCOPE_SYS
	global_load_b64 v[4:5], v53, s[2:3]
	s_wait_loadcnt 0x2
	v_readfirstlane_b32 s8, v0
	v_readfirstlane_b32 s9, v1
	s_add_nc_u64 s[0:1], s[8:9], 1
	s_delay_alu instid0(SALU_CYCLE_1) | instskip(NEXT) | instid1(SALU_CYCLE_1)
	s_add_nc_u64 s[4:5], s[0:1], s[4:5]
	s_cmp_eq_u64 s[4:5], 0
	s_cselect_b32 s1, s1, s5
	s_cselect_b32 s0, s0, s4
	s_delay_alu instid0(SALU_CYCLE_1) | instskip(SKIP_1) | instid1(SALU_CYCLE_1)
	v_dual_mov_b32 v7, s1 :: v_dual_mov_b32 v6, s0
	s_and_b64 s[4:5], s[0:1], s[8:9]
	s_mul_u64 s[4:5], s[4:5], 24
	s_wait_loadcnt 0x0
	v_add_nc_u64_e32 v[0:1], s[4:5], v[4:5]
	global_store_b64 v[0:1], v[8:9], off
	global_wb scope:SCOPE_SYS
	s_wait_storecnt 0x0
	s_wait_xcnt 0x0
	global_atomic_cmpswap_b64 v[6:7], v53, v[6:9], s[2:3] offset:24 th:TH_ATOMIC_RETURN scope:SCOPE_SYS
	s_wait_loadcnt 0x0
	v_cmp_ne_u64_e32 vcc_lo, v[6:7], v[8:9]
	s_and_b32 exec_lo, exec_lo, vcc_lo
	s_cbranch_execz .LBB3_1102
; %bb.1100:                             ;   in Loop: Header=BB3_3 Depth=1
	s_mov_b32 s4, 0
.LBB3_1101:                             ;   Parent Loop BB3_3 Depth=1
                                        ; =>  This Inner Loop Header: Depth=2
	v_dual_mov_b32 v4, s0 :: v_dual_mov_b32 v5, s1
	s_sleep 1
	global_store_b64 v[0:1], v[6:7], off
	global_wb scope:SCOPE_SYS
	s_wait_storecnt 0x0
	s_wait_xcnt 0x0
	global_atomic_cmpswap_b64 v[4:5], v53, v[4:7], s[2:3] offset:24 th:TH_ATOMIC_RETURN scope:SCOPE_SYS
	s_wait_loadcnt 0x0
	v_cmp_eq_u64_e32 vcc_lo, v[4:5], v[6:7]
	v_mov_b64_e32 v[6:7], v[4:5]
	s_or_b32 s4, vcc_lo, s4
	s_delay_alu instid0(SALU_CYCLE_1)
	s_and_not1_b32 exec_lo, exec_lo, s4
	s_cbranch_execnz .LBB3_1101
.LBB3_1102:                             ;   in Loop: Header=BB3_3 Depth=1
	s_or_b32 exec_lo, exec_lo, s6
.LBB3_1103:                             ;   in Loop: Header=BB3_3 Depth=1
	v_readfirstlane_b32 s0, v80
	s_wait_loadcnt 0x0
	v_mov_b64_e32 v[0:1], 0
	s_delay_alu instid0(VALU_DEP_2)
	v_cmp_eq_u32_e64 s0, s0, v80
	s_and_saveexec_b32 s1, s0
	s_cbranch_execz .LBB3_1109
; %bb.1104:                             ;   in Loop: Header=BB3_3 Depth=1
	global_load_b64 v[6:7], v53, s[2:3] offset:24 scope:SCOPE_SYS
	s_wait_loadcnt 0x0
	global_inv scope:SCOPE_SYS
	s_clause 0x1
	global_load_b64 v[0:1], v53, s[2:3] offset:40
	global_load_b64 v[4:5], v53, s[2:3]
	s_mov_b32 s4, exec_lo
	s_wait_loadcnt 0x1
	v_and_b32_e32 v0, v0, v6
	v_and_b32_e32 v1, v1, v7
	s_delay_alu instid0(VALU_DEP_1) | instskip(SKIP_1) | instid1(VALU_DEP_1)
	v_mul_u64_e32 v[0:1], 24, v[0:1]
	s_wait_loadcnt 0x0
	v_add_nc_u64_e32 v[0:1], v[4:5], v[0:1]
	global_load_b64 v[4:5], v[0:1], off scope:SCOPE_SYS
	s_wait_xcnt 0x0
	s_wait_loadcnt 0x0
	global_atomic_cmpswap_b64 v[0:1], v53, v[4:7], s[2:3] offset:24 th:TH_ATOMIC_RETURN scope:SCOPE_SYS
	s_wait_loadcnt 0x0
	global_inv scope:SCOPE_SYS
	s_wait_xcnt 0x0
	v_cmpx_ne_u64_e64 v[0:1], v[6:7]
	s_cbranch_execz .LBB3_1108
; %bb.1105:                             ;   in Loop: Header=BB3_3 Depth=1
	s_mov_b32 s5, 0
.LBB3_1106:                             ;   Parent Loop BB3_3 Depth=1
                                        ; =>  This Inner Loop Header: Depth=2
	s_sleep 1
	s_clause 0x1
	global_load_b64 v[4:5], v53, s[2:3] offset:40
	global_load_b64 v[8:9], v53, s[2:3]
	v_mov_b64_e32 v[6:7], v[0:1]
	s_wait_loadcnt 0x1
	s_delay_alu instid0(VALU_DEP_1) | instskip(NEXT) | instid1(VALU_DEP_2)
	v_and_b32_e32 v0, v4, v6
	v_and_b32_e32 v4, v5, v7
	s_wait_loadcnt 0x0
	s_delay_alu instid0(VALU_DEP_2) | instskip(NEXT) | instid1(VALU_DEP_1)
	v_mad_nc_u64_u32 v[0:1], v0, 24, v[8:9]
	v_mad_u32 v1, v4, 24, v1
	global_load_b64 v[4:5], v[0:1], off scope:SCOPE_SYS
	s_wait_xcnt 0x0
	s_wait_loadcnt 0x0
	global_atomic_cmpswap_b64 v[0:1], v53, v[4:7], s[2:3] offset:24 th:TH_ATOMIC_RETURN scope:SCOPE_SYS
	s_wait_loadcnt 0x0
	global_inv scope:SCOPE_SYS
	v_cmp_eq_u64_e32 vcc_lo, v[0:1], v[6:7]
	s_or_b32 s5, vcc_lo, s5
	s_wait_xcnt 0x0
	s_and_not1_b32 exec_lo, exec_lo, s5
	s_cbranch_execnz .LBB3_1106
; %bb.1107:                             ;   in Loop: Header=BB3_3 Depth=1
	s_or_b32 exec_lo, exec_lo, s5
.LBB3_1108:                             ;   in Loop: Header=BB3_3 Depth=1
	s_delay_alu instid0(SALU_CYCLE_1)
	s_or_b32 exec_lo, exec_lo, s4
.LBB3_1109:                             ;   in Loop: Header=BB3_3 Depth=1
	s_delay_alu instid0(SALU_CYCLE_1)
	s_or_b32 exec_lo, exec_lo, s1
	s_clause 0x1
	global_load_b64 v[4:5], v53, s[2:3] offset:40
	global_load_b128 v[6:9], v53, s[2:3]
	v_readfirstlane_b32 s4, v0
	v_readfirstlane_b32 s5, v1
	s_mov_b32 s1, exec_lo
	s_wait_loadcnt 0x1
	v_and_b32_e32 v0, s4, v4
	v_and_b32_e32 v1, s5, v5
	s_delay_alu instid0(VALU_DEP_1) | instskip(SKIP_1) | instid1(VALU_DEP_1)
	v_mul_u64_e32 v[4:5], 24, v[0:1]
	s_wait_loadcnt 0x0
	v_add_nc_u64_e32 v[10:11], v[6:7], v[4:5]
	s_wait_xcnt 0x0
	s_and_saveexec_b32 s6, s0
	s_cbranch_execz .LBB3_1111
; %bb.1110:                             ;   in Loop: Header=BB3_3 Depth=1
	v_mov_b32_e32 v52, s1
	global_store_b128 v[10:11], v[52:55], off offset:8
.LBB3_1111:                             ;   in Loop: Header=BB3_3 Depth=1
	s_wait_xcnt 0x0
	s_or_b32 exec_lo, exec_lo, s6
	v_lshlrev_b64_e32 v[0:1], 12, v[0:1]
	s_mov_b32 s17, s16
	s_mov_b32 s18, s16
	;; [unrolled: 1-line block ×3, first 2 shown]
	v_mov_b64_e32 v[12:13], s[16:17]
	v_mov_b64_e32 v[14:15], s[18:19]
	v_and_or_b32 v2, 0xffffff1f, v2, 32
	v_add_nc_u64_e32 v[8:9], v[8:9], v[0:1]
	v_dual_mov_b32 v4, v50 :: v_dual_mov_b32 v5, v51
	s_delay_alu instid0(VALU_DEP_2) | instskip(NEXT) | instid1(VALU_DEP_3)
	v_readfirstlane_b32 s6, v8
	v_readfirstlane_b32 s7, v9
	s_clause 0x3
	global_store_b128 v22, v[2:5], s[6:7]
	global_store_b128 v22, v[12:15], s[6:7] offset:16
	global_store_b128 v22, v[12:15], s[6:7] offset:32
	;; [unrolled: 1-line block ×3, first 2 shown]
	s_wait_xcnt 0x0
	s_and_saveexec_b32 s1, s0
	s_cbranch_execz .LBB3_1119
; %bb.1112:                             ;   in Loop: Header=BB3_3 Depth=1
	s_clause 0x1
	global_load_b64 v[14:15], v53, s[2:3] offset:32 scope:SCOPE_SYS
	global_load_b64 v[0:1], v53, s[2:3] offset:40
	s_mov_b32 s6, exec_lo
	v_dual_mov_b32 v12, s4 :: v_dual_mov_b32 v13, s5
	s_wait_loadcnt 0x0
	v_and_b32_e32 v1, s5, v1
	v_and_b32_e32 v0, s4, v0
	s_delay_alu instid0(VALU_DEP_1) | instskip(NEXT) | instid1(VALU_DEP_1)
	v_mul_u64_e32 v[0:1], 24, v[0:1]
	v_add_nc_u64_e32 v[4:5], v[6:7], v[0:1]
	global_store_b64 v[4:5], v[14:15], off
	global_wb scope:SCOPE_SYS
	s_wait_storecnt 0x0
	s_wait_xcnt 0x0
	global_atomic_cmpswap_b64 v[2:3], v53, v[12:15], s[2:3] offset:32 th:TH_ATOMIC_RETURN scope:SCOPE_SYS
	s_wait_loadcnt 0x0
	v_cmpx_ne_u64_e64 v[2:3], v[14:15]
	s_cbranch_execz .LBB3_1115
; %bb.1113:                             ;   in Loop: Header=BB3_3 Depth=1
	s_mov_b32 s7, 0
.LBB3_1114:                             ;   Parent Loop BB3_3 Depth=1
                                        ; =>  This Inner Loop Header: Depth=2
	v_dual_mov_b32 v0, s4 :: v_dual_mov_b32 v1, s5
	s_sleep 1
	global_store_b64 v[4:5], v[2:3], off
	global_wb scope:SCOPE_SYS
	s_wait_storecnt 0x0
	s_wait_xcnt 0x0
	global_atomic_cmpswap_b64 v[0:1], v53, v[0:3], s[2:3] offset:32 th:TH_ATOMIC_RETURN scope:SCOPE_SYS
	s_wait_loadcnt 0x0
	v_cmp_eq_u64_e32 vcc_lo, v[0:1], v[2:3]
	v_mov_b64_e32 v[2:3], v[0:1]
	s_or_b32 s7, vcc_lo, s7
	s_delay_alu instid0(SALU_CYCLE_1)
	s_and_not1_b32 exec_lo, exec_lo, s7
	s_cbranch_execnz .LBB3_1114
.LBB3_1115:                             ;   in Loop: Header=BB3_3 Depth=1
	s_or_b32 exec_lo, exec_lo, s6
	global_load_b64 v[0:1], v53, s[2:3] offset:16
	s_mov_b32 s7, exec_lo
	s_mov_b32 s6, exec_lo
	v_mbcnt_lo_u32_b32 v2, s7, 0
	s_wait_xcnt 0x0
	s_delay_alu instid0(VALU_DEP_1)
	v_cmpx_eq_u32_e32 0, v2
	s_cbranch_execz .LBB3_1117
; %bb.1116:                             ;   in Loop: Header=BB3_3 Depth=1
	s_bcnt1_i32_b32 s7, s7
	s_delay_alu instid0(SALU_CYCLE_1)
	v_mov_b32_e32 v52, s7
	global_wb scope:SCOPE_SYS
	s_wait_loadcnt 0x0
	s_wait_storecnt 0x0
	global_atomic_add_u64 v[0:1], v[52:53], off offset:8 scope:SCOPE_SYS
.LBB3_1117:                             ;   in Loop: Header=BB3_3 Depth=1
	s_wait_xcnt 0x0
	s_or_b32 exec_lo, exec_lo, s6
	s_wait_loadcnt 0x0
	global_load_b64 v[2:3], v[0:1], off offset:16
	s_wait_loadcnt 0x0
	v_cmp_eq_u64_e32 vcc_lo, 0, v[2:3]
	s_cbranch_vccnz .LBB3_1119
; %bb.1118:                             ;   in Loop: Header=BB3_3 Depth=1
	global_load_b32 v52, v[0:1], off offset:24
	s_wait_loadcnt 0x0
	v_readfirstlane_b32 s6, v52
	global_wb scope:SCOPE_SYS
	s_wait_storecnt 0x0
	s_wait_xcnt 0x0
	global_store_b64 v[2:3], v[52:53], off scope:SCOPE_SYS
	s_and_b32 m0, s6, 0xffffff
	s_sendmsg sendmsg(MSG_INTERRUPT)
.LBB3_1119:                             ;   in Loop: Header=BB3_3 Depth=1
	s_wait_xcnt 0x0
	s_or_b32 exec_lo, exec_lo, s1
	v_mov_b32_e32 v23, v53
	s_delay_alu instid0(VALU_DEP_1)
	v_add_nc_u64_e32 v[0:1], v[8:9], v[22:23]
	s_branch .LBB3_1123
.LBB3_1120:                             ;   in Loop: Header=BB3_1123 Depth=2
	s_wait_xcnt 0x0
	s_or_b32 exec_lo, exec_lo, s1
	s_delay_alu instid0(VALU_DEP_1)
	v_readfirstlane_b32 s1, v2
	s_cmp_eq_u32 s1, 0
	s_cbranch_scc1 .LBB3_1122
; %bb.1121:                             ;   in Loop: Header=BB3_1123 Depth=2
	s_sleep 1
	s_cbranch_execnz .LBB3_1123
	s_branch .LBB3_1125
.LBB3_1122:                             ;   in Loop: Header=BB3_3 Depth=1
	s_branch .LBB3_1125
.LBB3_1123:                             ;   Parent Loop BB3_3 Depth=1
                                        ; =>  This Inner Loop Header: Depth=2
	v_mov_b32_e32 v2, 1
	s_and_saveexec_b32 s1, s0
	s_cbranch_execz .LBB3_1120
; %bb.1124:                             ;   in Loop: Header=BB3_1123 Depth=2
	global_load_b32 v2, v[10:11], off offset:20 scope:SCOPE_SYS
	s_wait_loadcnt 0x0
	global_inv scope:SCOPE_SYS
	v_and_b32_e32 v2, 1, v2
	s_branch .LBB3_1120
.LBB3_1125:                             ;   in Loop: Header=BB3_3 Depth=1
	global_load_b64 v[2:3], v[0:1], off
	s_wait_xcnt 0x0
	s_and_saveexec_b32 s6, s0
	s_cbranch_execz .LBB3_1129
; %bb.1126:                             ;   in Loop: Header=BB3_3 Depth=1
	s_clause 0x2
	global_load_b64 v[0:1], v53, s[2:3] offset:40
	global_load_b64 v[8:9], v53, s[2:3] offset:24 scope:SCOPE_SYS
	global_load_b64 v[4:5], v53, s[2:3]
	s_wait_loadcnt 0x2
	v_readfirstlane_b32 s8, v0
	v_readfirstlane_b32 s9, v1
	s_add_nc_u64 s[0:1], s[8:9], 1
	s_delay_alu instid0(SALU_CYCLE_1) | instskip(NEXT) | instid1(SALU_CYCLE_1)
	s_add_nc_u64 s[4:5], s[0:1], s[4:5]
	s_cmp_eq_u64 s[4:5], 0
	s_cselect_b32 s1, s1, s5
	s_cselect_b32 s0, s0, s4
	s_delay_alu instid0(SALU_CYCLE_1) | instskip(SKIP_1) | instid1(SALU_CYCLE_1)
	v_dual_mov_b32 v7, s1 :: v_dual_mov_b32 v6, s0
	s_and_b64 s[4:5], s[0:1], s[8:9]
	s_mul_u64 s[4:5], s[4:5], 24
	s_wait_loadcnt 0x0
	v_add_nc_u64_e32 v[0:1], s[4:5], v[4:5]
	global_store_b64 v[0:1], v[8:9], off
	global_wb scope:SCOPE_SYS
	s_wait_storecnt 0x0
	s_wait_xcnt 0x0
	global_atomic_cmpswap_b64 v[6:7], v53, v[6:9], s[2:3] offset:24 th:TH_ATOMIC_RETURN scope:SCOPE_SYS
	s_wait_loadcnt 0x0
	v_cmp_ne_u64_e32 vcc_lo, v[6:7], v[8:9]
	s_and_b32 exec_lo, exec_lo, vcc_lo
	s_cbranch_execz .LBB3_1129
; %bb.1127:                             ;   in Loop: Header=BB3_3 Depth=1
	s_mov_b32 s4, 0
.LBB3_1128:                             ;   Parent Loop BB3_3 Depth=1
                                        ; =>  This Inner Loop Header: Depth=2
	v_dual_mov_b32 v4, s0 :: v_dual_mov_b32 v5, s1
	s_sleep 1
	global_store_b64 v[0:1], v[6:7], off
	global_wb scope:SCOPE_SYS
	s_wait_storecnt 0x0
	s_wait_xcnt 0x0
	global_atomic_cmpswap_b64 v[4:5], v53, v[4:7], s[2:3] offset:24 th:TH_ATOMIC_RETURN scope:SCOPE_SYS
	s_wait_loadcnt 0x0
	v_cmp_eq_u64_e32 vcc_lo, v[4:5], v[6:7]
	v_mov_b64_e32 v[6:7], v[4:5]
	s_or_b32 s4, vcc_lo, s4
	s_delay_alu instid0(SALU_CYCLE_1)
	s_and_not1_b32 exec_lo, exec_lo, s4
	s_cbranch_execnz .LBB3_1128
.LBB3_1129:                             ;   in Loop: Header=BB3_3 Depth=1
	s_or_b32 exec_lo, exec_lo, s6
	v_readfirstlane_b32 s0, v80
	v_mov_b64_e32 v[0:1], 0
	s_delay_alu instid0(VALU_DEP_2)
	v_cmp_eq_u32_e64 s0, s0, v80
	s_and_saveexec_b32 s1, s0
	s_cbranch_execz .LBB3_1135
; %bb.1130:                             ;   in Loop: Header=BB3_3 Depth=1
	global_load_b64 v[6:7], v53, s[2:3] offset:24 scope:SCOPE_SYS
	s_wait_loadcnt 0x0
	global_inv scope:SCOPE_SYS
	s_clause 0x1
	global_load_b64 v[0:1], v53, s[2:3] offset:40
	global_load_b64 v[4:5], v53, s[2:3]
	s_mov_b32 s4, exec_lo
	s_wait_loadcnt 0x1
	v_and_b32_e32 v0, v0, v6
	v_and_b32_e32 v1, v1, v7
	s_delay_alu instid0(VALU_DEP_1) | instskip(SKIP_1) | instid1(VALU_DEP_1)
	v_mul_u64_e32 v[0:1], 24, v[0:1]
	s_wait_loadcnt 0x0
	v_add_nc_u64_e32 v[0:1], v[4:5], v[0:1]
	global_load_b64 v[4:5], v[0:1], off scope:SCOPE_SYS
	s_wait_xcnt 0x0
	s_wait_loadcnt 0x0
	global_atomic_cmpswap_b64 v[0:1], v53, v[4:7], s[2:3] offset:24 th:TH_ATOMIC_RETURN scope:SCOPE_SYS
	s_wait_loadcnt 0x0
	global_inv scope:SCOPE_SYS
	s_wait_xcnt 0x0
	v_cmpx_ne_u64_e64 v[0:1], v[6:7]
	s_cbranch_execz .LBB3_1134
; %bb.1131:                             ;   in Loop: Header=BB3_3 Depth=1
	s_mov_b32 s5, 0
.LBB3_1132:                             ;   Parent Loop BB3_3 Depth=1
                                        ; =>  This Inner Loop Header: Depth=2
	s_sleep 1
	s_clause 0x1
	global_load_b64 v[4:5], v53, s[2:3] offset:40
	global_load_b64 v[8:9], v53, s[2:3]
	v_mov_b64_e32 v[6:7], v[0:1]
	s_wait_loadcnt 0x1
	s_delay_alu instid0(VALU_DEP_1) | instskip(NEXT) | instid1(VALU_DEP_2)
	v_and_b32_e32 v0, v4, v6
	v_and_b32_e32 v4, v5, v7
	s_wait_loadcnt 0x0
	s_delay_alu instid0(VALU_DEP_2) | instskip(NEXT) | instid1(VALU_DEP_1)
	v_mad_nc_u64_u32 v[0:1], v0, 24, v[8:9]
	v_mad_u32 v1, v4, 24, v1
	global_load_b64 v[4:5], v[0:1], off scope:SCOPE_SYS
	s_wait_xcnt 0x0
	s_wait_loadcnt 0x0
	global_atomic_cmpswap_b64 v[0:1], v53, v[4:7], s[2:3] offset:24 th:TH_ATOMIC_RETURN scope:SCOPE_SYS
	s_wait_loadcnt 0x0
	global_inv scope:SCOPE_SYS
	v_cmp_eq_u64_e32 vcc_lo, v[0:1], v[6:7]
	s_or_b32 s5, vcc_lo, s5
	s_wait_xcnt 0x0
	s_and_not1_b32 exec_lo, exec_lo, s5
	s_cbranch_execnz .LBB3_1132
; %bb.1133:                             ;   in Loop: Header=BB3_3 Depth=1
	s_or_b32 exec_lo, exec_lo, s5
.LBB3_1134:                             ;   in Loop: Header=BB3_3 Depth=1
	s_delay_alu instid0(SALU_CYCLE_1)
	s_or_b32 exec_lo, exec_lo, s4
.LBB3_1135:                             ;   in Loop: Header=BB3_3 Depth=1
	s_delay_alu instid0(SALU_CYCLE_1)
	s_or_b32 exec_lo, exec_lo, s1
	s_clause 0x1
	global_load_b64 v[4:5], v53, s[2:3] offset:40
	global_load_b128 v[6:9], v53, s[2:3]
	v_readfirstlane_b32 s4, v0
	v_readfirstlane_b32 s5, v1
	s_mov_b32 s1, exec_lo
	s_wait_loadcnt 0x1
	v_and_b32_e32 v0, s4, v4
	v_and_b32_e32 v1, s5, v5
	s_delay_alu instid0(VALU_DEP_1) | instskip(SKIP_1) | instid1(VALU_DEP_1)
	v_mul_u64_e32 v[4:5], 24, v[0:1]
	s_wait_loadcnt 0x0
	v_add_nc_u64_e32 v[10:11], v[6:7], v[4:5]
	s_wait_xcnt 0x0
	s_and_saveexec_b32 s6, s0
	s_cbranch_execz .LBB3_1137
; %bb.1136:                             ;   in Loop: Header=BB3_3 Depth=1
	v_mov_b32_e32 v52, s1
	global_store_b128 v[10:11], v[52:55], off offset:8
.LBB3_1137:                             ;   in Loop: Header=BB3_3 Depth=1
	s_wait_xcnt 0x0
	s_or_b32 exec_lo, exec_lo, s6
	v_lshlrev_b64_e32 v[4:5], 12, v[0:1]
	s_wait_dscnt 0x0
	v_sub_nc_u32_e32 v0, v30, v32
	s_mov_b32 s17, s16
	s_mov_b32 s18, s16
	;; [unrolled: 1-line block ×3, first 2 shown]
	v_mov_b64_e32 v[12:13], s[16:17]
	v_mov_b64_e32 v[14:15], s[18:19]
	v_add_nc_u64_e32 v[8:9], v[8:9], v[4:5]
	v_and_or_b32 v2, 0xffffff1f, v2, 32
	v_dual_mov_b32 v5, v53 :: v_dual_mov_b32 v4, v0
	s_delay_alu instid0(VALU_DEP_3) | instskip(NEXT) | instid1(VALU_DEP_4)
	v_readfirstlane_b32 s6, v8
	v_readfirstlane_b32 s7, v9
	s_clause 0x3
	global_store_b128 v22, v[2:5], s[6:7]
	global_store_b128 v22, v[12:15], s[6:7] offset:16
	global_store_b128 v22, v[12:15], s[6:7] offset:32
	;; [unrolled: 1-line block ×3, first 2 shown]
	s_wait_xcnt 0x0
	s_and_saveexec_b32 s1, s0
	s_cbranch_execz .LBB3_1145
; %bb.1138:                             ;   in Loop: Header=BB3_3 Depth=1
	s_clause 0x1
	global_load_b64 v[14:15], v53, s[2:3] offset:32 scope:SCOPE_SYS
	global_load_b64 v[2:3], v53, s[2:3] offset:40
	s_mov_b32 s6, exec_lo
	v_dual_mov_b32 v12, s4 :: v_dual_mov_b32 v13, s5
	s_wait_loadcnt 0x0
	v_and_b32_e32 v3, s5, v3
	v_and_b32_e32 v2, s4, v2
	s_delay_alu instid0(VALU_DEP_1) | instskip(NEXT) | instid1(VALU_DEP_1)
	v_mul_u64_e32 v[2:3], 24, v[2:3]
	v_add_nc_u64_e32 v[6:7], v[6:7], v[2:3]
	global_store_b64 v[6:7], v[14:15], off
	global_wb scope:SCOPE_SYS
	s_wait_storecnt 0x0
	s_wait_xcnt 0x0
	global_atomic_cmpswap_b64 v[4:5], v53, v[12:15], s[2:3] offset:32 th:TH_ATOMIC_RETURN scope:SCOPE_SYS
	s_wait_loadcnt 0x0
	v_cmpx_ne_u64_e64 v[4:5], v[14:15]
	s_cbranch_execz .LBB3_1141
; %bb.1139:                             ;   in Loop: Header=BB3_3 Depth=1
	s_mov_b32 s7, 0
.LBB3_1140:                             ;   Parent Loop BB3_3 Depth=1
                                        ; =>  This Inner Loop Header: Depth=2
	v_dual_mov_b32 v2, s4 :: v_dual_mov_b32 v3, s5
	s_sleep 1
	global_store_b64 v[6:7], v[4:5], off
	global_wb scope:SCOPE_SYS
	s_wait_storecnt 0x0
	s_wait_xcnt 0x0
	global_atomic_cmpswap_b64 v[2:3], v53, v[2:5], s[2:3] offset:32 th:TH_ATOMIC_RETURN scope:SCOPE_SYS
	s_wait_loadcnt 0x0
	v_cmp_eq_u64_e32 vcc_lo, v[2:3], v[4:5]
	v_mov_b64_e32 v[4:5], v[2:3]
	s_or_b32 s7, vcc_lo, s7
	s_delay_alu instid0(SALU_CYCLE_1)
	s_and_not1_b32 exec_lo, exec_lo, s7
	s_cbranch_execnz .LBB3_1140
.LBB3_1141:                             ;   in Loop: Header=BB3_3 Depth=1
	s_or_b32 exec_lo, exec_lo, s6
	global_load_b64 v[2:3], v53, s[2:3] offset:16
	s_mov_b32 s7, exec_lo
	s_mov_b32 s6, exec_lo
	v_mbcnt_lo_u32_b32 v1, s7, 0
	s_wait_xcnt 0x0
	s_delay_alu instid0(VALU_DEP_1)
	v_cmpx_eq_u32_e32 0, v1
	s_cbranch_execz .LBB3_1143
; %bb.1142:                             ;   in Loop: Header=BB3_3 Depth=1
	s_bcnt1_i32_b32 s7, s7
	s_delay_alu instid0(SALU_CYCLE_1)
	v_dual_mov_b32 v5, v53 :: v_dual_mov_b32 v4, s7
	global_wb scope:SCOPE_SYS
	s_wait_loadcnt 0x0
	s_wait_storecnt 0x0
	global_atomic_add_u64 v[2:3], v[4:5], off offset:8 scope:SCOPE_SYS
.LBB3_1143:                             ;   in Loop: Header=BB3_3 Depth=1
	s_wait_xcnt 0x0
	s_or_b32 exec_lo, exec_lo, s6
	s_wait_loadcnt 0x0
	global_load_b64 v[4:5], v[2:3], off offset:16
	s_wait_loadcnt 0x0
	v_cmp_eq_u64_e32 vcc_lo, 0, v[4:5]
	s_cbranch_vccnz .LBB3_1145
; %bb.1144:                             ;   in Loop: Header=BB3_3 Depth=1
	global_load_b32 v2, v[2:3], off offset:24
	s_wait_xcnt 0x0
	v_mov_b32_e32 v3, v53
	s_wait_loadcnt 0x0
	v_readfirstlane_b32 s6, v2
	global_wb scope:SCOPE_SYS
	s_wait_storecnt 0x0
	global_store_b64 v[4:5], v[2:3], off scope:SCOPE_SYS
	s_and_b32 m0, s6, 0xffffff
	s_sendmsg sendmsg(MSG_INTERRUPT)
.LBB3_1145:                             ;   in Loop: Header=BB3_3 Depth=1
	s_wait_xcnt 0x0
	s_or_b32 exec_lo, exec_lo, s1
	v_mov_b32_e32 v23, v53
	s_delay_alu instid0(VALU_DEP_1)
	v_add_nc_u64_e32 v[2:3], v[8:9], v[22:23]
	s_branch .LBB3_1149
.LBB3_1146:                             ;   in Loop: Header=BB3_1149 Depth=2
	s_wait_xcnt 0x0
	s_or_b32 exec_lo, exec_lo, s1
	s_delay_alu instid0(VALU_DEP_1)
	v_readfirstlane_b32 s1, v1
	s_cmp_eq_u32 s1, 0
	s_cbranch_scc1 .LBB3_1148
; %bb.1147:                             ;   in Loop: Header=BB3_1149 Depth=2
	s_sleep 1
	s_cbranch_execnz .LBB3_1149
	s_branch .LBB3_1151
.LBB3_1148:                             ;   in Loop: Header=BB3_3 Depth=1
	s_branch .LBB3_1151
.LBB3_1149:                             ;   Parent Loop BB3_3 Depth=1
                                        ; =>  This Inner Loop Header: Depth=2
	v_mov_b32_e32 v1, 1
	s_and_saveexec_b32 s1, s0
	s_cbranch_execz .LBB3_1146
; %bb.1150:                             ;   in Loop: Header=BB3_1149 Depth=2
	global_load_b32 v1, v[10:11], off offset:20 scope:SCOPE_SYS
	s_wait_loadcnt 0x0
	global_inv scope:SCOPE_SYS
	v_and_b32_e32 v1, 1, v1
	s_branch .LBB3_1146
.LBB3_1151:                             ;   in Loop: Header=BB3_3 Depth=1
	global_load_b64 v[2:3], v[2:3], off
	s_wait_xcnt 0x0
	s_and_saveexec_b32 s6, s0
	s_cbranch_execz .LBB3_1155
; %bb.1152:                             ;   in Loop: Header=BB3_3 Depth=1
	s_clause 0x2
	global_load_b64 v[4:5], v53, s[2:3] offset:40
	global_load_b64 v[12:13], v53, s[2:3] offset:24 scope:SCOPE_SYS
	global_load_b64 v[6:7], v53, s[2:3]
	s_wait_loadcnt 0x2
	v_readfirstlane_b32 s8, v4
	v_readfirstlane_b32 s9, v5
	s_add_nc_u64 s[0:1], s[8:9], 1
	s_delay_alu instid0(SALU_CYCLE_1) | instskip(NEXT) | instid1(SALU_CYCLE_1)
	s_add_nc_u64 s[4:5], s[0:1], s[4:5]
	s_cmp_eq_u64 s[4:5], 0
	s_cselect_b32 s1, s1, s5
	s_cselect_b32 s0, s0, s4
	s_delay_alu instid0(SALU_CYCLE_1) | instskip(SKIP_1) | instid1(SALU_CYCLE_1)
	v_dual_mov_b32 v11, s1 :: v_dual_mov_b32 v10, s0
	s_and_b64 s[4:5], s[0:1], s[8:9]
	s_mul_u64 s[4:5], s[4:5], 24
	s_wait_loadcnt 0x0
	v_add_nc_u64_e32 v[8:9], s[4:5], v[6:7]
	global_store_b64 v[8:9], v[12:13], off
	global_wb scope:SCOPE_SYS
	s_wait_storecnt 0x0
	s_wait_xcnt 0x0
	global_atomic_cmpswap_b64 v[6:7], v53, v[10:13], s[2:3] offset:24 th:TH_ATOMIC_RETURN scope:SCOPE_SYS
	s_wait_loadcnt 0x0
	v_cmp_ne_u64_e32 vcc_lo, v[6:7], v[12:13]
	s_and_b32 exec_lo, exec_lo, vcc_lo
	s_cbranch_execz .LBB3_1155
; %bb.1153:                             ;   in Loop: Header=BB3_3 Depth=1
	s_mov_b32 s4, 0
.LBB3_1154:                             ;   Parent Loop BB3_3 Depth=1
                                        ; =>  This Inner Loop Header: Depth=2
	v_dual_mov_b32 v4, s0 :: v_dual_mov_b32 v5, s1
	s_sleep 1
	global_store_b64 v[8:9], v[6:7], off
	global_wb scope:SCOPE_SYS
	s_wait_storecnt 0x0
	s_wait_xcnt 0x0
	global_atomic_cmpswap_b64 v[4:5], v53, v[4:7], s[2:3] offset:24 th:TH_ATOMIC_RETURN scope:SCOPE_SYS
	s_wait_loadcnt 0x0
	v_cmp_eq_u64_e32 vcc_lo, v[4:5], v[6:7]
	v_mov_b64_e32 v[6:7], v[4:5]
	s_or_b32 s4, vcc_lo, s4
	s_delay_alu instid0(SALU_CYCLE_1)
	s_and_not1_b32 exec_lo, exec_lo, s4
	s_cbranch_execnz .LBB3_1154
.LBB3_1155:                             ;   in Loop: Header=BB3_3 Depth=1
	s_or_b32 exec_lo, exec_lo, s6
	v_readfirstlane_b32 s0, v80
	v_mov_b64_e32 v[4:5], 0
	s_delay_alu instid0(VALU_DEP_2)
	v_cmp_eq_u32_e64 s0, s0, v80
	s_and_saveexec_b32 s1, s0
	s_cbranch_execz .LBB3_1161
; %bb.1156:                             ;   in Loop: Header=BB3_3 Depth=1
	global_load_b64 v[6:7], v53, s[2:3] offset:24 scope:SCOPE_SYS
	s_wait_loadcnt 0x0
	global_inv scope:SCOPE_SYS
	s_clause 0x1
	global_load_b64 v[4:5], v53, s[2:3] offset:40
	global_load_b64 v[8:9], v53, s[2:3]
	s_mov_b32 s4, exec_lo
	s_wait_loadcnt 0x1
	v_and_b32_e32 v4, v4, v6
	v_and_b32_e32 v5, v5, v7
	s_delay_alu instid0(VALU_DEP_1) | instskip(SKIP_1) | instid1(VALU_DEP_1)
	v_mul_u64_e32 v[4:5], 24, v[4:5]
	s_wait_loadcnt 0x0
	v_add_nc_u64_e32 v[4:5], v[8:9], v[4:5]
	global_load_b64 v[4:5], v[4:5], off scope:SCOPE_SYS
	s_wait_xcnt 0x0
	s_wait_loadcnt 0x0
	global_atomic_cmpswap_b64 v[4:5], v53, v[4:7], s[2:3] offset:24 th:TH_ATOMIC_RETURN scope:SCOPE_SYS
	s_wait_loadcnt 0x0
	global_inv scope:SCOPE_SYS
	s_wait_xcnt 0x0
	v_cmpx_ne_u64_e64 v[4:5], v[6:7]
	s_cbranch_execz .LBB3_1160
; %bb.1157:                             ;   in Loop: Header=BB3_3 Depth=1
	s_mov_b32 s5, 0
.LBB3_1158:                             ;   Parent Loop BB3_3 Depth=1
                                        ; =>  This Inner Loop Header: Depth=2
	s_sleep 1
	s_clause 0x1
	global_load_b64 v[8:9], v53, s[2:3] offset:40
	global_load_b64 v[10:11], v53, s[2:3]
	v_mov_b64_e32 v[6:7], v[4:5]
	s_wait_loadcnt 0x1
	s_delay_alu instid0(VALU_DEP_1) | instskip(SKIP_1) | instid1(VALU_DEP_1)
	v_and_b32_e32 v1, v8, v6
	s_wait_loadcnt 0x0
	v_mad_nc_u64_u32 v[4:5], v1, 24, v[10:11]
	s_delay_alu instid0(VALU_DEP_3) | instskip(NEXT) | instid1(VALU_DEP_1)
	v_and_b32_e32 v1, v9, v7
	v_mad_u32 v5, v1, 24, v5
	global_load_b64 v[4:5], v[4:5], off scope:SCOPE_SYS
	s_wait_xcnt 0x0
	s_wait_loadcnt 0x0
	global_atomic_cmpswap_b64 v[4:5], v53, v[4:7], s[2:3] offset:24 th:TH_ATOMIC_RETURN scope:SCOPE_SYS
	s_wait_loadcnt 0x0
	global_inv scope:SCOPE_SYS
	v_cmp_eq_u64_e32 vcc_lo, v[4:5], v[6:7]
	s_or_b32 s5, vcc_lo, s5
	s_wait_xcnt 0x0
	s_and_not1_b32 exec_lo, exec_lo, s5
	s_cbranch_execnz .LBB3_1158
; %bb.1159:                             ;   in Loop: Header=BB3_3 Depth=1
	s_or_b32 exec_lo, exec_lo, s5
.LBB3_1160:                             ;   in Loop: Header=BB3_3 Depth=1
	s_delay_alu instid0(SALU_CYCLE_1)
	s_or_b32 exec_lo, exec_lo, s4
.LBB3_1161:                             ;   in Loop: Header=BB3_3 Depth=1
	s_delay_alu instid0(SALU_CYCLE_1)
	s_or_b32 exec_lo, exec_lo, s1
	s_clause 0x1
	global_load_b64 v[10:11], v53, s[2:3] offset:40
	global_load_b128 v[6:9], v53, s[2:3]
	v_readfirstlane_b32 s4, v4
	v_readfirstlane_b32 s5, v5
	s_mov_b32 s1, exec_lo
	s_wait_loadcnt 0x1
	v_and_b32_e32 v4, s4, v10
	v_and_b32_e32 v5, s5, v11
	s_delay_alu instid0(VALU_DEP_1) | instskip(SKIP_1) | instid1(VALU_DEP_1)
	v_mul_u64_e32 v[10:11], 24, v[4:5]
	s_wait_loadcnt 0x0
	v_add_nc_u64_e32 v[10:11], v[6:7], v[10:11]
	s_wait_xcnt 0x0
	s_and_saveexec_b32 s6, s0
	s_cbranch_execz .LBB3_1163
; %bb.1162:                             ;   in Loop: Header=BB3_3 Depth=1
	v_mov_b64_e32 v[14:15], v[54:55]
	v_dual_mov_b32 v12, s1 :: v_dual_mov_b32 v13, v53
	global_store_b128 v[10:11], v[12:15], off offset:8
.LBB3_1163:                             ;   in Loop: Header=BB3_3 Depth=1
	s_wait_xcnt 0x0
	s_or_b32 exec_lo, exec_lo, s6
	v_lshlrev_b64_e32 v[4:5], 12, v[4:5]
	s_mov_b32 s17, s16
	s_mov_b32 s18, s16
	;; [unrolled: 1-line block ×3, first 2 shown]
	v_mov_b64_e32 v[12:13], s[16:17]
	v_mov_b64_e32 v[14:15], s[18:19]
	v_and_or_b32 v2, 0xffffff1d, v2, 34
	v_add_nc_u64_e32 v[8:9], v[8:9], v[4:5]
	v_dual_mov_b32 v4, v0 :: v_dual_mov_b32 v5, v53
	s_delay_alu instid0(VALU_DEP_2) | instskip(NEXT) | instid1(VALU_DEP_3)
	v_readfirstlane_b32 s6, v8
	v_readfirstlane_b32 s7, v9
	s_clause 0x3
	global_store_b128 v22, v[2:5], s[6:7]
	global_store_b128 v22, v[12:15], s[6:7] offset:16
	global_store_b128 v22, v[12:15], s[6:7] offset:32
	;; [unrolled: 1-line block ×3, first 2 shown]
	s_wait_xcnt 0x0
	s_and_saveexec_b32 s1, s0
	s_cbranch_execz .LBB3_1171
; %bb.1164:                             ;   in Loop: Header=BB3_3 Depth=1
	s_clause 0x1
	global_load_b64 v[14:15], v53, s[2:3] offset:32 scope:SCOPE_SYS
	global_load_b64 v[0:1], v53, s[2:3] offset:40
	s_mov_b32 s6, exec_lo
	v_dual_mov_b32 v12, s4 :: v_dual_mov_b32 v13, s5
	s_wait_loadcnt 0x0
	v_and_b32_e32 v1, s5, v1
	v_and_b32_e32 v0, s4, v0
	s_delay_alu instid0(VALU_DEP_1) | instskip(NEXT) | instid1(VALU_DEP_1)
	v_mul_u64_e32 v[0:1], 24, v[0:1]
	v_add_nc_u64_e32 v[4:5], v[6:7], v[0:1]
	global_store_b64 v[4:5], v[14:15], off
	global_wb scope:SCOPE_SYS
	s_wait_storecnt 0x0
	s_wait_xcnt 0x0
	global_atomic_cmpswap_b64 v[2:3], v53, v[12:15], s[2:3] offset:32 th:TH_ATOMIC_RETURN scope:SCOPE_SYS
	s_wait_loadcnt 0x0
	v_cmpx_ne_u64_e64 v[2:3], v[14:15]
	s_cbranch_execz .LBB3_1167
; %bb.1165:                             ;   in Loop: Header=BB3_3 Depth=1
	s_mov_b32 s7, 0
.LBB3_1166:                             ;   Parent Loop BB3_3 Depth=1
                                        ; =>  This Inner Loop Header: Depth=2
	v_dual_mov_b32 v0, s4 :: v_dual_mov_b32 v1, s5
	s_sleep 1
	global_store_b64 v[4:5], v[2:3], off
	global_wb scope:SCOPE_SYS
	s_wait_storecnt 0x0
	s_wait_xcnt 0x0
	global_atomic_cmpswap_b64 v[0:1], v53, v[0:3], s[2:3] offset:32 th:TH_ATOMIC_RETURN scope:SCOPE_SYS
	s_wait_loadcnt 0x0
	v_cmp_eq_u64_e32 vcc_lo, v[0:1], v[2:3]
	v_mov_b64_e32 v[2:3], v[0:1]
	s_or_b32 s7, vcc_lo, s7
	s_delay_alu instid0(SALU_CYCLE_1)
	s_and_not1_b32 exec_lo, exec_lo, s7
	s_cbranch_execnz .LBB3_1166
.LBB3_1167:                             ;   in Loop: Header=BB3_3 Depth=1
	s_or_b32 exec_lo, exec_lo, s6
	global_load_b64 v[0:1], v53, s[2:3] offset:16
	s_mov_b32 s7, exec_lo
	s_mov_b32 s6, exec_lo
	v_mbcnt_lo_u32_b32 v2, s7, 0
	s_wait_xcnt 0x0
	s_delay_alu instid0(VALU_DEP_1)
	v_cmpx_eq_u32_e32 0, v2
	s_cbranch_execz .LBB3_1169
; %bb.1168:                             ;   in Loop: Header=BB3_3 Depth=1
	s_bcnt1_i32_b32 s7, s7
	s_delay_alu instid0(SALU_CYCLE_1)
	v_mov_b32_e32 v52, s7
	global_wb scope:SCOPE_SYS
	s_wait_loadcnt 0x0
	s_wait_storecnt 0x0
	global_atomic_add_u64 v[0:1], v[52:53], off offset:8 scope:SCOPE_SYS
.LBB3_1169:                             ;   in Loop: Header=BB3_3 Depth=1
	s_wait_xcnt 0x0
	s_or_b32 exec_lo, exec_lo, s6
	s_wait_loadcnt 0x0
	global_load_b64 v[2:3], v[0:1], off offset:16
	s_wait_loadcnt 0x0
	v_cmp_eq_u64_e32 vcc_lo, 0, v[2:3]
	s_cbranch_vccnz .LBB3_1171
; %bb.1170:                             ;   in Loop: Header=BB3_3 Depth=1
	global_load_b32 v52, v[0:1], off offset:24
	s_wait_loadcnt 0x0
	v_readfirstlane_b32 s6, v52
	global_wb scope:SCOPE_SYS
	s_wait_storecnt 0x0
	s_wait_xcnt 0x0
	global_store_b64 v[2:3], v[52:53], off scope:SCOPE_SYS
	s_and_b32 m0, s6, 0xffffff
	s_sendmsg sendmsg(MSG_INTERRUPT)
.LBB3_1171:                             ;   in Loop: Header=BB3_3 Depth=1
	s_wait_xcnt 0x0
	s_or_b32 exec_lo, exec_lo, s1
	v_mov_b32_e32 v23, v53
	s_delay_alu instid0(VALU_DEP_1)
	v_add_nc_u64_e32 v[0:1], v[8:9], v[22:23]
	s_branch .LBB3_1175
.LBB3_1172:                             ;   in Loop: Header=BB3_1175 Depth=2
	s_wait_xcnt 0x0
	s_or_b32 exec_lo, exec_lo, s1
	s_delay_alu instid0(VALU_DEP_1)
	v_readfirstlane_b32 s1, v2
	s_cmp_eq_u32 s1, 0
	s_cbranch_scc1 .LBB3_1174
; %bb.1173:                             ;   in Loop: Header=BB3_1175 Depth=2
	s_sleep 1
	s_cbranch_execnz .LBB3_1175
	s_branch .LBB3_1177
.LBB3_1174:                             ;   in Loop: Header=BB3_3 Depth=1
	s_branch .LBB3_1177
.LBB3_1175:                             ;   Parent Loop BB3_3 Depth=1
                                        ; =>  This Inner Loop Header: Depth=2
	v_mov_b32_e32 v2, 1
	s_and_saveexec_b32 s1, s0
	s_cbranch_execz .LBB3_1172
; %bb.1176:                             ;   in Loop: Header=BB3_1175 Depth=2
	global_load_b32 v2, v[10:11], off offset:20 scope:SCOPE_SYS
	s_wait_loadcnt 0x0
	global_inv scope:SCOPE_SYS
	v_and_b32_e32 v2, 1, v2
	s_branch .LBB3_1172
.LBB3_1177:                             ;   in Loop: Header=BB3_3 Depth=1
	global_load_b64 v[0:1], v[0:1], off
	s_wait_xcnt 0x0
	s_and_saveexec_b32 s6, s0
	s_cbranch_execz .LBB3_1181
; %bb.1178:                             ;   in Loop: Header=BB3_3 Depth=1
	s_clause 0x2
	global_load_b64 v[2:3], v53, s[2:3] offset:40
	global_load_b64 v[10:11], v53, s[2:3] offset:24 scope:SCOPE_SYS
	global_load_b64 v[4:5], v53, s[2:3]
	s_wait_loadcnt 0x2
	v_readfirstlane_b32 s8, v2
	v_readfirstlane_b32 s9, v3
	s_add_nc_u64 s[0:1], s[8:9], 1
	s_delay_alu instid0(SALU_CYCLE_1) | instskip(NEXT) | instid1(SALU_CYCLE_1)
	s_add_nc_u64 s[4:5], s[0:1], s[4:5]
	s_cmp_eq_u64 s[4:5], 0
	s_cselect_b32 s1, s1, s5
	s_cselect_b32 s0, s0, s4
	s_delay_alu instid0(SALU_CYCLE_1) | instskip(SKIP_1) | instid1(SALU_CYCLE_1)
	v_dual_mov_b32 v9, s1 :: v_dual_mov_b32 v8, s0
	s_and_b64 s[4:5], s[0:1], s[8:9]
	s_mul_u64 s[4:5], s[4:5], 24
	s_wait_loadcnt 0x0
	v_add_nc_u64_e32 v[6:7], s[4:5], v[4:5]
	global_store_b64 v[6:7], v[10:11], off
	global_wb scope:SCOPE_SYS
	s_wait_storecnt 0x0
	s_wait_xcnt 0x0
	global_atomic_cmpswap_b64 v[4:5], v53, v[8:11], s[2:3] offset:24 th:TH_ATOMIC_RETURN scope:SCOPE_SYS
	s_wait_loadcnt 0x0
	v_cmp_ne_u64_e32 vcc_lo, v[4:5], v[10:11]
	s_and_b32 exec_lo, exec_lo, vcc_lo
	s_cbranch_execz .LBB3_1181
; %bb.1179:                             ;   in Loop: Header=BB3_3 Depth=1
	s_mov_b32 s4, 0
.LBB3_1180:                             ;   Parent Loop BB3_3 Depth=1
                                        ; =>  This Inner Loop Header: Depth=2
	v_dual_mov_b32 v2, s0 :: v_dual_mov_b32 v3, s1
	s_sleep 1
	global_store_b64 v[6:7], v[4:5], off
	global_wb scope:SCOPE_SYS
	s_wait_storecnt 0x0
	s_wait_xcnt 0x0
	global_atomic_cmpswap_b64 v[2:3], v53, v[2:5], s[2:3] offset:24 th:TH_ATOMIC_RETURN scope:SCOPE_SYS
	s_wait_loadcnt 0x0
	v_cmp_eq_u64_e32 vcc_lo, v[2:3], v[4:5]
	v_mov_b64_e32 v[4:5], v[2:3]
	s_or_b32 s4, vcc_lo, s4
	s_delay_alu instid0(SALU_CYCLE_1)
	s_and_not1_b32 exec_lo, exec_lo, s4
	s_cbranch_execnz .LBB3_1180
.LBB3_1181:                             ;   in Loop: Header=BB3_3 Depth=1
	s_or_b32 exec_lo, exec_lo, s6
	s_delay_alu instid0(SALU_CYCLE_1)
	s_or_b32 exec_lo, exec_lo, s56
                                        ; implicit-def: $vgpr30
	s_and_not1_saveexec_b32 s47, s47
	s_cbranch_execnz .LBB3_886
	s_branch .LBB3_1503
.LBB3_1182:                             ;   in Loop: Header=BB3_3 Depth=1
                                        ; implicit-def: $vgpr2_vgpr3
	s_cbranch_execz .LBB3_1210
; %bb.1183:                             ;   in Loop: Header=BB3_3 Depth=1
	v_readfirstlane_b32 s0, v80
	s_wait_loadcnt 0x0
	v_mov_b64_e32 v[2:3], 0
	s_delay_alu instid0(VALU_DEP_2)
	v_cmp_eq_u32_e64 s0, s0, v80
	s_and_saveexec_b32 s1, s0
	s_cbranch_execz .LBB3_1189
; %bb.1184:                             ;   in Loop: Header=BB3_3 Depth=1
	global_load_b64 v[4:5], v53, s[2:3] offset:24 scope:SCOPE_SYS
	s_wait_loadcnt 0x0
	global_inv scope:SCOPE_SYS
	s_clause 0x1
	global_load_b64 v[2:3], v53, s[2:3] offset:40
	global_load_b64 v[6:7], v53, s[2:3]
	s_mov_b32 s4, exec_lo
	s_wait_loadcnt 0x1
	v_and_b32_e32 v2, v2, v4
	v_and_b32_e32 v3, v3, v5
	s_delay_alu instid0(VALU_DEP_1) | instskip(SKIP_1) | instid1(VALU_DEP_1)
	v_mul_u64_e32 v[2:3], 24, v[2:3]
	s_wait_loadcnt 0x0
	v_add_nc_u64_e32 v[2:3], v[6:7], v[2:3]
	global_load_b64 v[2:3], v[2:3], off scope:SCOPE_SYS
	s_wait_xcnt 0x0
	s_wait_loadcnt 0x0
	global_atomic_cmpswap_b64 v[2:3], v53, v[2:5], s[2:3] offset:24 th:TH_ATOMIC_RETURN scope:SCOPE_SYS
	s_wait_loadcnt 0x0
	global_inv scope:SCOPE_SYS
	s_wait_xcnt 0x0
	v_cmpx_ne_u64_e64 v[2:3], v[4:5]
	s_cbranch_execz .LBB3_1188
; %bb.1185:                             ;   in Loop: Header=BB3_3 Depth=1
	s_mov_b32 s5, 0
.LBB3_1186:                             ;   Parent Loop BB3_3 Depth=1
                                        ; =>  This Inner Loop Header: Depth=2
	s_sleep 1
	s_clause 0x1
	global_load_b64 v[6:7], v53, s[2:3] offset:40
	global_load_b64 v[8:9], v53, s[2:3]
	v_mov_b64_e32 v[4:5], v[2:3]
	s_wait_loadcnt 0x1
	s_delay_alu instid0(VALU_DEP_1) | instskip(NEXT) | instid1(VALU_DEP_2)
	v_and_b32_e32 v2, v6, v4
	v_and_b32_e32 v6, v7, v5
	s_wait_loadcnt 0x0
	s_delay_alu instid0(VALU_DEP_2) | instskip(NEXT) | instid1(VALU_DEP_1)
	v_mad_nc_u64_u32 v[2:3], v2, 24, v[8:9]
	v_mad_u32 v3, v6, 24, v3
	global_load_b64 v[2:3], v[2:3], off scope:SCOPE_SYS
	s_wait_xcnt 0x0
	s_wait_loadcnt 0x0
	global_atomic_cmpswap_b64 v[2:3], v53, v[2:5], s[2:3] offset:24 th:TH_ATOMIC_RETURN scope:SCOPE_SYS
	s_wait_loadcnt 0x0
	global_inv scope:SCOPE_SYS
	v_cmp_eq_u64_e32 vcc_lo, v[2:3], v[4:5]
	s_or_b32 s5, vcc_lo, s5
	s_wait_xcnt 0x0
	s_and_not1_b32 exec_lo, exec_lo, s5
	s_cbranch_execnz .LBB3_1186
; %bb.1187:                             ;   in Loop: Header=BB3_3 Depth=1
	s_or_b32 exec_lo, exec_lo, s5
.LBB3_1188:                             ;   in Loop: Header=BB3_3 Depth=1
	s_delay_alu instid0(SALU_CYCLE_1)
	s_or_b32 exec_lo, exec_lo, s4
.LBB3_1189:                             ;   in Loop: Header=BB3_3 Depth=1
	s_delay_alu instid0(SALU_CYCLE_1)
	s_or_b32 exec_lo, exec_lo, s1
	s_clause 0x1
	global_load_b64 v[8:9], v53, s[2:3] offset:40
	global_load_b128 v[4:7], v53, s[2:3]
	v_readfirstlane_b32 s4, v2
	v_readfirstlane_b32 s5, v3
	s_mov_b32 s1, exec_lo
	s_wait_loadcnt 0x1
	v_and_b32_e32 v2, s4, v8
	v_and_b32_e32 v3, s5, v9
	s_delay_alu instid0(VALU_DEP_1) | instskip(SKIP_1) | instid1(VALU_DEP_1)
	v_mul_u64_e32 v[8:9], 24, v[2:3]
	s_wait_loadcnt 0x0
	v_add_nc_u64_e32 v[8:9], v[4:5], v[8:9]
	s_wait_xcnt 0x0
	s_and_saveexec_b32 s6, s0
	s_cbranch_execz .LBB3_1191
; %bb.1190:                             ;   in Loop: Header=BB3_3 Depth=1
	v_mov_b32_e32 v52, s1
	global_store_b128 v[8:9], v[52:55], off offset:8
.LBB3_1191:                             ;   in Loop: Header=BB3_3 Depth=1
	s_wait_xcnt 0x0
	s_or_b32 exec_lo, exec_lo, s6
	v_lshlrev_b64_e32 v[2:3], 12, v[2:3]
	s_mov_b32 s17, s16
	s_mov_b32 s18, s16
	;; [unrolled: 1-line block ×3, first 2 shown]
	v_mov_b64_e32 v[10:11], s[16:17]
	v_mov_b64_e32 v[12:13], s[18:19]
	v_and_or_b32 v0, 0xffffff1f, v0, 32
	v_add_nc_u64_e32 v[6:7], v[6:7], v[2:3]
	v_dual_mov_b32 v2, v53 :: v_dual_mov_b32 v3, v53
	s_delay_alu instid0(VALU_DEP_2) | instskip(NEXT) | instid1(VALU_DEP_3)
	v_readfirstlane_b32 s6, v6
	v_readfirstlane_b32 s7, v7
	s_clause 0x3
	global_store_b128 v22, v[0:3], s[6:7]
	global_store_b128 v22, v[10:13], s[6:7] offset:16
	global_store_b128 v22, v[10:13], s[6:7] offset:32
	;; [unrolled: 1-line block ×3, first 2 shown]
	s_wait_xcnt 0x0
	s_and_saveexec_b32 s1, s0
	s_cbranch_execz .LBB3_1199
; %bb.1192:                             ;   in Loop: Header=BB3_3 Depth=1
	s_clause 0x1
	global_load_b64 v[12:13], v53, s[2:3] offset:32 scope:SCOPE_SYS
	global_load_b64 v[0:1], v53, s[2:3] offset:40
	s_mov_b32 s6, exec_lo
	v_dual_mov_b32 v10, s4 :: v_dual_mov_b32 v11, s5
	s_wait_loadcnt 0x0
	v_and_b32_e32 v1, s5, v1
	v_and_b32_e32 v0, s4, v0
	s_delay_alu instid0(VALU_DEP_1) | instskip(NEXT) | instid1(VALU_DEP_1)
	v_mul_u64_e32 v[0:1], 24, v[0:1]
	v_add_nc_u64_e32 v[4:5], v[4:5], v[0:1]
	global_store_b64 v[4:5], v[12:13], off
	global_wb scope:SCOPE_SYS
	s_wait_storecnt 0x0
	s_wait_xcnt 0x0
	global_atomic_cmpswap_b64 v[2:3], v53, v[10:13], s[2:3] offset:32 th:TH_ATOMIC_RETURN scope:SCOPE_SYS
	s_wait_loadcnt 0x0
	v_cmpx_ne_u64_e64 v[2:3], v[12:13]
	s_cbranch_execz .LBB3_1195
; %bb.1193:                             ;   in Loop: Header=BB3_3 Depth=1
	s_mov_b32 s7, 0
.LBB3_1194:                             ;   Parent Loop BB3_3 Depth=1
                                        ; =>  This Inner Loop Header: Depth=2
	v_dual_mov_b32 v0, s4 :: v_dual_mov_b32 v1, s5
	s_sleep 1
	global_store_b64 v[4:5], v[2:3], off
	global_wb scope:SCOPE_SYS
	s_wait_storecnt 0x0
	s_wait_xcnt 0x0
	global_atomic_cmpswap_b64 v[0:1], v53, v[0:3], s[2:3] offset:32 th:TH_ATOMIC_RETURN scope:SCOPE_SYS
	s_wait_loadcnt 0x0
	v_cmp_eq_u64_e32 vcc_lo, v[0:1], v[2:3]
	v_mov_b64_e32 v[2:3], v[0:1]
	s_or_b32 s7, vcc_lo, s7
	s_delay_alu instid0(SALU_CYCLE_1)
	s_and_not1_b32 exec_lo, exec_lo, s7
	s_cbranch_execnz .LBB3_1194
.LBB3_1195:                             ;   in Loop: Header=BB3_3 Depth=1
	s_or_b32 exec_lo, exec_lo, s6
	global_load_b64 v[0:1], v53, s[2:3] offset:16
	s_mov_b32 s7, exec_lo
	s_mov_b32 s6, exec_lo
	v_mbcnt_lo_u32_b32 v2, s7, 0
	s_wait_xcnt 0x0
	s_delay_alu instid0(VALU_DEP_1)
	v_cmpx_eq_u32_e32 0, v2
	s_cbranch_execz .LBB3_1197
; %bb.1196:                             ;   in Loop: Header=BB3_3 Depth=1
	s_bcnt1_i32_b32 s7, s7
	s_delay_alu instid0(SALU_CYCLE_1)
	v_mov_b32_e32 v52, s7
	global_wb scope:SCOPE_SYS
	s_wait_loadcnt 0x0
	s_wait_storecnt 0x0
	global_atomic_add_u64 v[0:1], v[52:53], off offset:8 scope:SCOPE_SYS
.LBB3_1197:                             ;   in Loop: Header=BB3_3 Depth=1
	s_wait_xcnt 0x0
	s_or_b32 exec_lo, exec_lo, s6
	s_wait_loadcnt 0x0
	global_load_b64 v[2:3], v[0:1], off offset:16
	s_wait_loadcnt 0x0
	v_cmp_eq_u64_e32 vcc_lo, 0, v[2:3]
	s_cbranch_vccnz .LBB3_1199
; %bb.1198:                             ;   in Loop: Header=BB3_3 Depth=1
	global_load_b32 v52, v[0:1], off offset:24
	s_wait_loadcnt 0x0
	v_readfirstlane_b32 s6, v52
	global_wb scope:SCOPE_SYS
	s_wait_storecnt 0x0
	s_wait_xcnt 0x0
	global_store_b64 v[2:3], v[52:53], off scope:SCOPE_SYS
	s_and_b32 m0, s6, 0xffffff
	s_sendmsg sendmsg(MSG_INTERRUPT)
.LBB3_1199:                             ;   in Loop: Header=BB3_3 Depth=1
	s_wait_xcnt 0x0
	s_or_b32 exec_lo, exec_lo, s1
	v_mov_b32_e32 v23, v53
	s_delay_alu instid0(VALU_DEP_1)
	v_add_nc_u64_e32 v[0:1], v[6:7], v[22:23]
	s_branch .LBB3_1203
.LBB3_1200:                             ;   in Loop: Header=BB3_1203 Depth=2
	s_wait_xcnt 0x0
	s_or_b32 exec_lo, exec_lo, s1
	s_delay_alu instid0(VALU_DEP_1)
	v_readfirstlane_b32 s1, v2
	s_cmp_eq_u32 s1, 0
	s_cbranch_scc1 .LBB3_1202
; %bb.1201:                             ;   in Loop: Header=BB3_1203 Depth=2
	s_sleep 1
	s_cbranch_execnz .LBB3_1203
	s_branch .LBB3_1205
.LBB3_1202:                             ;   in Loop: Header=BB3_3 Depth=1
	s_branch .LBB3_1205
.LBB3_1203:                             ;   Parent Loop BB3_3 Depth=1
                                        ; =>  This Inner Loop Header: Depth=2
	v_mov_b32_e32 v2, 1
	s_and_saveexec_b32 s1, s0
	s_cbranch_execz .LBB3_1200
; %bb.1204:                             ;   in Loop: Header=BB3_1203 Depth=2
	global_load_b32 v2, v[8:9], off offset:20 scope:SCOPE_SYS
	s_wait_loadcnt 0x0
	global_inv scope:SCOPE_SYS
	v_and_b32_e32 v2, 1, v2
	s_branch .LBB3_1200
.LBB3_1205:                             ;   in Loop: Header=BB3_3 Depth=1
	global_load_b64 v[2:3], v[0:1], off
	s_wait_xcnt 0x0
	s_and_saveexec_b32 s6, s0
	s_cbranch_execz .LBB3_1209
; %bb.1206:                             ;   in Loop: Header=BB3_3 Depth=1
	s_clause 0x2
	global_load_b64 v[0:1], v53, s[2:3] offset:40
	global_load_b64 v[8:9], v53, s[2:3] offset:24 scope:SCOPE_SYS
	global_load_b64 v[4:5], v53, s[2:3]
	s_wait_loadcnt 0x2
	v_readfirstlane_b32 s8, v0
	v_readfirstlane_b32 s9, v1
	s_add_nc_u64 s[0:1], s[8:9], 1
	s_delay_alu instid0(SALU_CYCLE_1) | instskip(NEXT) | instid1(SALU_CYCLE_1)
	s_add_nc_u64 s[4:5], s[0:1], s[4:5]
	s_cmp_eq_u64 s[4:5], 0
	s_cselect_b32 s1, s1, s5
	s_cselect_b32 s0, s0, s4
	s_delay_alu instid0(SALU_CYCLE_1) | instskip(SKIP_1) | instid1(SALU_CYCLE_1)
	v_dual_mov_b32 v7, s1 :: v_dual_mov_b32 v6, s0
	s_and_b64 s[4:5], s[0:1], s[8:9]
	s_mul_u64 s[4:5], s[4:5], 24
	s_wait_loadcnt 0x0
	v_add_nc_u64_e32 v[0:1], s[4:5], v[4:5]
	global_store_b64 v[0:1], v[8:9], off
	global_wb scope:SCOPE_SYS
	s_wait_storecnt 0x0
	s_wait_xcnt 0x0
	global_atomic_cmpswap_b64 v[6:7], v53, v[6:9], s[2:3] offset:24 th:TH_ATOMIC_RETURN scope:SCOPE_SYS
	s_wait_loadcnt 0x0
	v_cmp_ne_u64_e32 vcc_lo, v[6:7], v[8:9]
	s_and_b32 exec_lo, exec_lo, vcc_lo
	s_cbranch_execz .LBB3_1209
; %bb.1207:                             ;   in Loop: Header=BB3_3 Depth=1
	s_mov_b32 s4, 0
.LBB3_1208:                             ;   Parent Loop BB3_3 Depth=1
                                        ; =>  This Inner Loop Header: Depth=2
	v_dual_mov_b32 v4, s0 :: v_dual_mov_b32 v5, s1
	s_sleep 1
	global_store_b64 v[0:1], v[6:7], off
	global_wb scope:SCOPE_SYS
	s_wait_storecnt 0x0
	s_wait_xcnt 0x0
	global_atomic_cmpswap_b64 v[4:5], v53, v[4:7], s[2:3] offset:24 th:TH_ATOMIC_RETURN scope:SCOPE_SYS
	s_wait_loadcnt 0x0
	v_cmp_eq_u64_e32 vcc_lo, v[4:5], v[6:7]
	v_mov_b64_e32 v[6:7], v[4:5]
	s_or_b32 s4, vcc_lo, s4
	s_delay_alu instid0(SALU_CYCLE_1)
	s_and_not1_b32 exec_lo, exec_lo, s4
	s_cbranch_execnz .LBB3_1208
.LBB3_1209:                             ;   in Loop: Header=BB3_3 Depth=1
	s_or_b32 exec_lo, exec_lo, s6
.LBB3_1210:                             ;   in Loop: Header=BB3_3 Depth=1
	v_readfirstlane_b32 s0, v80
	s_wait_loadcnt 0x0
	v_mov_b64_e32 v[0:1], 0
	s_delay_alu instid0(VALU_DEP_2)
	v_cmp_eq_u32_e64 s0, s0, v80
	s_and_saveexec_b32 s1, s0
	s_cbranch_execz .LBB3_1216
; %bb.1211:                             ;   in Loop: Header=BB3_3 Depth=1
	global_load_b64 v[6:7], v53, s[2:3] offset:24 scope:SCOPE_SYS
	s_wait_loadcnt 0x0
	global_inv scope:SCOPE_SYS
	s_clause 0x1
	global_load_b64 v[0:1], v53, s[2:3] offset:40
	global_load_b64 v[4:5], v53, s[2:3]
	s_mov_b32 s4, exec_lo
	s_wait_loadcnt 0x1
	v_and_b32_e32 v0, v0, v6
	v_and_b32_e32 v1, v1, v7
	s_delay_alu instid0(VALU_DEP_1) | instskip(SKIP_1) | instid1(VALU_DEP_1)
	v_mul_u64_e32 v[0:1], 24, v[0:1]
	s_wait_loadcnt 0x0
	v_add_nc_u64_e32 v[0:1], v[4:5], v[0:1]
	global_load_b64 v[4:5], v[0:1], off scope:SCOPE_SYS
	s_wait_xcnt 0x0
	s_wait_loadcnt 0x0
	global_atomic_cmpswap_b64 v[0:1], v53, v[4:7], s[2:3] offset:24 th:TH_ATOMIC_RETURN scope:SCOPE_SYS
	s_wait_loadcnt 0x0
	global_inv scope:SCOPE_SYS
	s_wait_xcnt 0x0
	v_cmpx_ne_u64_e64 v[0:1], v[6:7]
	s_cbranch_execz .LBB3_1215
; %bb.1212:                             ;   in Loop: Header=BB3_3 Depth=1
	s_mov_b32 s5, 0
.LBB3_1213:                             ;   Parent Loop BB3_3 Depth=1
                                        ; =>  This Inner Loop Header: Depth=2
	s_sleep 1
	s_clause 0x1
	global_load_b64 v[4:5], v53, s[2:3] offset:40
	global_load_b64 v[8:9], v53, s[2:3]
	v_mov_b64_e32 v[6:7], v[0:1]
	s_wait_loadcnt 0x1
	s_delay_alu instid0(VALU_DEP_1) | instskip(NEXT) | instid1(VALU_DEP_2)
	v_and_b32_e32 v0, v4, v6
	v_and_b32_e32 v4, v5, v7
	s_wait_loadcnt 0x0
	s_delay_alu instid0(VALU_DEP_2) | instskip(NEXT) | instid1(VALU_DEP_1)
	v_mad_nc_u64_u32 v[0:1], v0, 24, v[8:9]
	v_mad_u32 v1, v4, 24, v1
	global_load_b64 v[4:5], v[0:1], off scope:SCOPE_SYS
	s_wait_xcnt 0x0
	s_wait_loadcnt 0x0
	global_atomic_cmpswap_b64 v[0:1], v53, v[4:7], s[2:3] offset:24 th:TH_ATOMIC_RETURN scope:SCOPE_SYS
	s_wait_loadcnt 0x0
	global_inv scope:SCOPE_SYS
	v_cmp_eq_u64_e32 vcc_lo, v[0:1], v[6:7]
	s_or_b32 s5, vcc_lo, s5
	s_wait_xcnt 0x0
	s_and_not1_b32 exec_lo, exec_lo, s5
	s_cbranch_execnz .LBB3_1213
; %bb.1214:                             ;   in Loop: Header=BB3_3 Depth=1
	s_or_b32 exec_lo, exec_lo, s5
.LBB3_1215:                             ;   in Loop: Header=BB3_3 Depth=1
	s_delay_alu instid0(SALU_CYCLE_1)
	s_or_b32 exec_lo, exec_lo, s4
.LBB3_1216:                             ;   in Loop: Header=BB3_3 Depth=1
	s_delay_alu instid0(SALU_CYCLE_1)
	s_or_b32 exec_lo, exec_lo, s1
	s_clause 0x1
	global_load_b64 v[4:5], v53, s[2:3] offset:40
	global_load_b128 v[6:9], v53, s[2:3]
	v_readfirstlane_b32 s4, v0
	v_readfirstlane_b32 s5, v1
	s_mov_b32 s1, exec_lo
	s_wait_loadcnt 0x1
	v_and_b32_e32 v0, s4, v4
	v_and_b32_e32 v1, s5, v5
	s_delay_alu instid0(VALU_DEP_1) | instskip(SKIP_1) | instid1(VALU_DEP_1)
	v_mul_u64_e32 v[4:5], 24, v[0:1]
	s_wait_loadcnt 0x0
	v_add_nc_u64_e32 v[10:11], v[6:7], v[4:5]
	s_wait_xcnt 0x0
	s_and_saveexec_b32 s6, s0
	s_cbranch_execz .LBB3_1218
; %bb.1217:                             ;   in Loop: Header=BB3_3 Depth=1
	v_mov_b32_e32 v52, s1
	global_store_b128 v[10:11], v[52:55], off offset:8
.LBB3_1218:                             ;   in Loop: Header=BB3_3 Depth=1
	s_wait_xcnt 0x0
	s_or_b32 exec_lo, exec_lo, s6
	v_lshlrev_b64_e32 v[0:1], 12, v[0:1]
	s_mov_b32 s17, s16
	s_mov_b32 s18, s16
	;; [unrolled: 1-line block ×3, first 2 shown]
	v_mov_b64_e32 v[12:13], s[16:17]
	v_mov_b64_e32 v[14:15], s[18:19]
	v_and_or_b32 v2, 0xffffff1f, v2, 32
	v_add_nc_u64_e32 v[8:9], v[8:9], v[0:1]
	v_dual_mov_b32 v4, v50 :: v_dual_mov_b32 v5, v51
	s_delay_alu instid0(VALU_DEP_2) | instskip(NEXT) | instid1(VALU_DEP_3)
	v_readfirstlane_b32 s6, v8
	v_readfirstlane_b32 s7, v9
	s_clause 0x3
	global_store_b128 v22, v[2:5], s[6:7]
	global_store_b128 v22, v[12:15], s[6:7] offset:16
	global_store_b128 v22, v[12:15], s[6:7] offset:32
	;; [unrolled: 1-line block ×3, first 2 shown]
	s_wait_xcnt 0x0
	s_and_saveexec_b32 s1, s0
	s_cbranch_execz .LBB3_1226
; %bb.1219:                             ;   in Loop: Header=BB3_3 Depth=1
	s_clause 0x1
	global_load_b64 v[14:15], v53, s[2:3] offset:32 scope:SCOPE_SYS
	global_load_b64 v[0:1], v53, s[2:3] offset:40
	s_mov_b32 s6, exec_lo
	v_dual_mov_b32 v12, s4 :: v_dual_mov_b32 v13, s5
	s_wait_loadcnt 0x0
	v_and_b32_e32 v1, s5, v1
	v_and_b32_e32 v0, s4, v0
	s_delay_alu instid0(VALU_DEP_1) | instskip(NEXT) | instid1(VALU_DEP_1)
	v_mul_u64_e32 v[0:1], 24, v[0:1]
	v_add_nc_u64_e32 v[4:5], v[6:7], v[0:1]
	global_store_b64 v[4:5], v[14:15], off
	global_wb scope:SCOPE_SYS
	s_wait_storecnt 0x0
	s_wait_xcnt 0x0
	global_atomic_cmpswap_b64 v[2:3], v53, v[12:15], s[2:3] offset:32 th:TH_ATOMIC_RETURN scope:SCOPE_SYS
	s_wait_loadcnt 0x0
	v_cmpx_ne_u64_e64 v[2:3], v[14:15]
	s_cbranch_execz .LBB3_1222
; %bb.1220:                             ;   in Loop: Header=BB3_3 Depth=1
	s_mov_b32 s7, 0
.LBB3_1221:                             ;   Parent Loop BB3_3 Depth=1
                                        ; =>  This Inner Loop Header: Depth=2
	v_dual_mov_b32 v0, s4 :: v_dual_mov_b32 v1, s5
	s_sleep 1
	global_store_b64 v[4:5], v[2:3], off
	global_wb scope:SCOPE_SYS
	s_wait_storecnt 0x0
	s_wait_xcnt 0x0
	global_atomic_cmpswap_b64 v[0:1], v53, v[0:3], s[2:3] offset:32 th:TH_ATOMIC_RETURN scope:SCOPE_SYS
	s_wait_loadcnt 0x0
	v_cmp_eq_u64_e32 vcc_lo, v[0:1], v[2:3]
	v_mov_b64_e32 v[2:3], v[0:1]
	s_or_b32 s7, vcc_lo, s7
	s_delay_alu instid0(SALU_CYCLE_1)
	s_and_not1_b32 exec_lo, exec_lo, s7
	s_cbranch_execnz .LBB3_1221
.LBB3_1222:                             ;   in Loop: Header=BB3_3 Depth=1
	s_or_b32 exec_lo, exec_lo, s6
	global_load_b64 v[0:1], v53, s[2:3] offset:16
	s_mov_b32 s7, exec_lo
	s_mov_b32 s6, exec_lo
	v_mbcnt_lo_u32_b32 v2, s7, 0
	s_wait_xcnt 0x0
	s_delay_alu instid0(VALU_DEP_1)
	v_cmpx_eq_u32_e32 0, v2
	s_cbranch_execz .LBB3_1224
; %bb.1223:                             ;   in Loop: Header=BB3_3 Depth=1
	s_bcnt1_i32_b32 s7, s7
	s_delay_alu instid0(SALU_CYCLE_1)
	v_mov_b32_e32 v52, s7
	global_wb scope:SCOPE_SYS
	s_wait_loadcnt 0x0
	s_wait_storecnt 0x0
	global_atomic_add_u64 v[0:1], v[52:53], off offset:8 scope:SCOPE_SYS
.LBB3_1224:                             ;   in Loop: Header=BB3_3 Depth=1
	s_wait_xcnt 0x0
	s_or_b32 exec_lo, exec_lo, s6
	s_wait_loadcnt 0x0
	global_load_b64 v[2:3], v[0:1], off offset:16
	s_wait_loadcnt 0x0
	v_cmp_eq_u64_e32 vcc_lo, 0, v[2:3]
	s_cbranch_vccnz .LBB3_1226
; %bb.1225:                             ;   in Loop: Header=BB3_3 Depth=1
	global_load_b32 v52, v[0:1], off offset:24
	s_wait_loadcnt 0x0
	v_readfirstlane_b32 s6, v52
	global_wb scope:SCOPE_SYS
	s_wait_storecnt 0x0
	s_wait_xcnt 0x0
	global_store_b64 v[2:3], v[52:53], off scope:SCOPE_SYS
	s_and_b32 m0, s6, 0xffffff
	s_sendmsg sendmsg(MSG_INTERRUPT)
.LBB3_1226:                             ;   in Loop: Header=BB3_3 Depth=1
	s_wait_xcnt 0x0
	s_or_b32 exec_lo, exec_lo, s1
	v_mov_b32_e32 v23, v53
	s_delay_alu instid0(VALU_DEP_1)
	v_add_nc_u64_e32 v[0:1], v[8:9], v[22:23]
	s_branch .LBB3_1230
.LBB3_1227:                             ;   in Loop: Header=BB3_1230 Depth=2
	s_wait_xcnt 0x0
	s_or_b32 exec_lo, exec_lo, s1
	s_delay_alu instid0(VALU_DEP_1)
	v_readfirstlane_b32 s1, v2
	s_cmp_eq_u32 s1, 0
	s_cbranch_scc1 .LBB3_1229
; %bb.1228:                             ;   in Loop: Header=BB3_1230 Depth=2
	s_sleep 1
	s_cbranch_execnz .LBB3_1230
	s_branch .LBB3_1232
.LBB3_1229:                             ;   in Loop: Header=BB3_3 Depth=1
	s_branch .LBB3_1232
.LBB3_1230:                             ;   Parent Loop BB3_3 Depth=1
                                        ; =>  This Inner Loop Header: Depth=2
	v_mov_b32_e32 v2, 1
	s_and_saveexec_b32 s1, s0
	s_cbranch_execz .LBB3_1227
; %bb.1231:                             ;   in Loop: Header=BB3_1230 Depth=2
	global_load_b32 v2, v[10:11], off offset:20 scope:SCOPE_SYS
	s_wait_loadcnt 0x0
	global_inv scope:SCOPE_SYS
	v_and_b32_e32 v2, 1, v2
	s_branch .LBB3_1227
.LBB3_1232:                             ;   in Loop: Header=BB3_3 Depth=1
	global_load_b64 v[2:3], v[0:1], off
	s_wait_xcnt 0x0
	s_and_saveexec_b32 s6, s0
	s_cbranch_execz .LBB3_1236
; %bb.1233:                             ;   in Loop: Header=BB3_3 Depth=1
	s_clause 0x2
	global_load_b64 v[0:1], v53, s[2:3] offset:40
	global_load_b64 v[8:9], v53, s[2:3] offset:24 scope:SCOPE_SYS
	global_load_b64 v[4:5], v53, s[2:3]
	s_wait_loadcnt 0x2
	v_readfirstlane_b32 s8, v0
	v_readfirstlane_b32 s9, v1
	s_add_nc_u64 s[0:1], s[8:9], 1
	s_delay_alu instid0(SALU_CYCLE_1) | instskip(NEXT) | instid1(SALU_CYCLE_1)
	s_add_nc_u64 s[4:5], s[0:1], s[4:5]
	s_cmp_eq_u64 s[4:5], 0
	s_cselect_b32 s1, s1, s5
	s_cselect_b32 s0, s0, s4
	s_delay_alu instid0(SALU_CYCLE_1) | instskip(SKIP_1) | instid1(SALU_CYCLE_1)
	v_dual_mov_b32 v7, s1 :: v_dual_mov_b32 v6, s0
	s_and_b64 s[4:5], s[0:1], s[8:9]
	s_mul_u64 s[4:5], s[4:5], 24
	s_wait_loadcnt 0x0
	v_add_nc_u64_e32 v[0:1], s[4:5], v[4:5]
	global_store_b64 v[0:1], v[8:9], off
	global_wb scope:SCOPE_SYS
	s_wait_storecnt 0x0
	s_wait_xcnt 0x0
	global_atomic_cmpswap_b64 v[6:7], v53, v[6:9], s[2:3] offset:24 th:TH_ATOMIC_RETURN scope:SCOPE_SYS
	s_wait_loadcnt 0x0
	v_cmp_ne_u64_e32 vcc_lo, v[6:7], v[8:9]
	s_and_b32 exec_lo, exec_lo, vcc_lo
	s_cbranch_execz .LBB3_1236
; %bb.1234:                             ;   in Loop: Header=BB3_3 Depth=1
	s_mov_b32 s4, 0
.LBB3_1235:                             ;   Parent Loop BB3_3 Depth=1
                                        ; =>  This Inner Loop Header: Depth=2
	v_dual_mov_b32 v4, s0 :: v_dual_mov_b32 v5, s1
	s_sleep 1
	global_store_b64 v[0:1], v[6:7], off
	global_wb scope:SCOPE_SYS
	s_wait_storecnt 0x0
	s_wait_xcnt 0x0
	global_atomic_cmpswap_b64 v[4:5], v53, v[4:7], s[2:3] offset:24 th:TH_ATOMIC_RETURN scope:SCOPE_SYS
	s_wait_loadcnt 0x0
	v_cmp_eq_u64_e32 vcc_lo, v[4:5], v[6:7]
	v_mov_b64_e32 v[6:7], v[4:5]
	s_or_b32 s4, vcc_lo, s4
	s_delay_alu instid0(SALU_CYCLE_1)
	s_and_not1_b32 exec_lo, exec_lo, s4
	s_cbranch_execnz .LBB3_1235
.LBB3_1236:                             ;   in Loop: Header=BB3_3 Depth=1
	s_or_b32 exec_lo, exec_lo, s6
	v_readfirstlane_b32 s0, v80
	v_mov_b64_e32 v[0:1], 0
	s_delay_alu instid0(VALU_DEP_2)
	v_cmp_eq_u32_e64 s0, s0, v80
	s_and_saveexec_b32 s1, s0
	s_cbranch_execz .LBB3_1242
; %bb.1237:                             ;   in Loop: Header=BB3_3 Depth=1
	global_load_b64 v[6:7], v53, s[2:3] offset:24 scope:SCOPE_SYS
	s_wait_loadcnt 0x0
	global_inv scope:SCOPE_SYS
	s_clause 0x1
	global_load_b64 v[0:1], v53, s[2:3] offset:40
	global_load_b64 v[4:5], v53, s[2:3]
	s_mov_b32 s4, exec_lo
	s_wait_loadcnt 0x1
	v_and_b32_e32 v0, v0, v6
	v_and_b32_e32 v1, v1, v7
	s_delay_alu instid0(VALU_DEP_1) | instskip(SKIP_1) | instid1(VALU_DEP_1)
	v_mul_u64_e32 v[0:1], 24, v[0:1]
	s_wait_loadcnt 0x0
	v_add_nc_u64_e32 v[0:1], v[4:5], v[0:1]
	global_load_b64 v[4:5], v[0:1], off scope:SCOPE_SYS
	s_wait_xcnt 0x0
	s_wait_loadcnt 0x0
	global_atomic_cmpswap_b64 v[0:1], v53, v[4:7], s[2:3] offset:24 th:TH_ATOMIC_RETURN scope:SCOPE_SYS
	s_wait_loadcnt 0x0
	global_inv scope:SCOPE_SYS
	s_wait_xcnt 0x0
	v_cmpx_ne_u64_e64 v[0:1], v[6:7]
	s_cbranch_execz .LBB3_1241
; %bb.1238:                             ;   in Loop: Header=BB3_3 Depth=1
	s_mov_b32 s5, 0
.LBB3_1239:                             ;   Parent Loop BB3_3 Depth=1
                                        ; =>  This Inner Loop Header: Depth=2
	s_sleep 1
	s_clause 0x1
	global_load_b64 v[4:5], v53, s[2:3] offset:40
	global_load_b64 v[8:9], v53, s[2:3]
	v_mov_b64_e32 v[6:7], v[0:1]
	s_wait_loadcnt 0x1
	s_delay_alu instid0(VALU_DEP_1) | instskip(NEXT) | instid1(VALU_DEP_2)
	v_and_b32_e32 v0, v4, v6
	v_and_b32_e32 v4, v5, v7
	s_wait_loadcnt 0x0
	s_delay_alu instid0(VALU_DEP_2) | instskip(NEXT) | instid1(VALU_DEP_1)
	v_mad_nc_u64_u32 v[0:1], v0, 24, v[8:9]
	v_mad_u32 v1, v4, 24, v1
	global_load_b64 v[4:5], v[0:1], off scope:SCOPE_SYS
	s_wait_xcnt 0x0
	s_wait_loadcnt 0x0
	global_atomic_cmpswap_b64 v[0:1], v53, v[4:7], s[2:3] offset:24 th:TH_ATOMIC_RETURN scope:SCOPE_SYS
	s_wait_loadcnt 0x0
	global_inv scope:SCOPE_SYS
	v_cmp_eq_u64_e32 vcc_lo, v[0:1], v[6:7]
	s_or_b32 s5, vcc_lo, s5
	s_wait_xcnt 0x0
	s_and_not1_b32 exec_lo, exec_lo, s5
	s_cbranch_execnz .LBB3_1239
; %bb.1240:                             ;   in Loop: Header=BB3_3 Depth=1
	s_or_b32 exec_lo, exec_lo, s5
.LBB3_1241:                             ;   in Loop: Header=BB3_3 Depth=1
	s_delay_alu instid0(SALU_CYCLE_1)
	s_or_b32 exec_lo, exec_lo, s4
.LBB3_1242:                             ;   in Loop: Header=BB3_3 Depth=1
	s_delay_alu instid0(SALU_CYCLE_1)
	s_or_b32 exec_lo, exec_lo, s1
	s_clause 0x1
	global_load_b64 v[4:5], v53, s[2:3] offset:40
	global_load_b128 v[6:9], v53, s[2:3]
	v_readfirstlane_b32 s4, v0
	v_readfirstlane_b32 s5, v1
	s_mov_b32 s1, exec_lo
	s_wait_loadcnt 0x1
	v_and_b32_e32 v0, s4, v4
	v_and_b32_e32 v1, s5, v5
	s_delay_alu instid0(VALU_DEP_1) | instskip(SKIP_1) | instid1(VALU_DEP_1)
	v_mul_u64_e32 v[4:5], 24, v[0:1]
	s_wait_loadcnt 0x0
	v_add_nc_u64_e32 v[10:11], v[6:7], v[4:5]
	s_wait_xcnt 0x0
	s_and_saveexec_b32 s6, s0
	s_cbranch_execz .LBB3_1244
; %bb.1243:                             ;   in Loop: Header=BB3_3 Depth=1
	v_mov_b32_e32 v52, s1
	global_store_b128 v[10:11], v[52:55], off offset:8
.LBB3_1244:                             ;   in Loop: Header=BB3_3 Depth=1
	s_wait_xcnt 0x0
	s_or_b32 exec_lo, exec_lo, s6
	v_lshlrev_b64_e32 v[4:5], 12, v[0:1]
	s_wait_dscnt 0x0
	v_mul_lo_u32 v0, v32, v30
	s_mov_b32 s17, s16
	s_mov_b32 s18, s16
	;; [unrolled: 1-line block ×3, first 2 shown]
	v_mov_b64_e32 v[12:13], s[16:17]
	v_mov_b64_e32 v[14:15], s[18:19]
	v_add_nc_u64_e32 v[8:9], v[8:9], v[4:5]
	v_and_or_b32 v2, 0xffffff1f, v2, 32
	v_dual_mov_b32 v5, v53 :: v_dual_mov_b32 v4, v0
	s_delay_alu instid0(VALU_DEP_3) | instskip(NEXT) | instid1(VALU_DEP_4)
	v_readfirstlane_b32 s6, v8
	v_readfirstlane_b32 s7, v9
	s_clause 0x3
	global_store_b128 v22, v[2:5], s[6:7]
	global_store_b128 v22, v[12:15], s[6:7] offset:16
	global_store_b128 v22, v[12:15], s[6:7] offset:32
	global_store_b128 v22, v[12:15], s[6:7] offset:48
	s_wait_xcnt 0x0
	s_and_saveexec_b32 s1, s0
	s_cbranch_execz .LBB3_1252
; %bb.1245:                             ;   in Loop: Header=BB3_3 Depth=1
	s_clause 0x1
	global_load_b64 v[14:15], v53, s[2:3] offset:32 scope:SCOPE_SYS
	global_load_b64 v[2:3], v53, s[2:3] offset:40
	s_mov_b32 s6, exec_lo
	v_dual_mov_b32 v12, s4 :: v_dual_mov_b32 v13, s5
	s_wait_loadcnt 0x0
	v_and_b32_e32 v3, s5, v3
	v_and_b32_e32 v2, s4, v2
	s_delay_alu instid0(VALU_DEP_1) | instskip(NEXT) | instid1(VALU_DEP_1)
	v_mul_u64_e32 v[2:3], 24, v[2:3]
	v_add_nc_u64_e32 v[6:7], v[6:7], v[2:3]
	global_store_b64 v[6:7], v[14:15], off
	global_wb scope:SCOPE_SYS
	s_wait_storecnt 0x0
	s_wait_xcnt 0x0
	global_atomic_cmpswap_b64 v[4:5], v53, v[12:15], s[2:3] offset:32 th:TH_ATOMIC_RETURN scope:SCOPE_SYS
	s_wait_loadcnt 0x0
	v_cmpx_ne_u64_e64 v[4:5], v[14:15]
	s_cbranch_execz .LBB3_1248
; %bb.1246:                             ;   in Loop: Header=BB3_3 Depth=1
	s_mov_b32 s7, 0
.LBB3_1247:                             ;   Parent Loop BB3_3 Depth=1
                                        ; =>  This Inner Loop Header: Depth=2
	v_dual_mov_b32 v2, s4 :: v_dual_mov_b32 v3, s5
	s_sleep 1
	global_store_b64 v[6:7], v[4:5], off
	global_wb scope:SCOPE_SYS
	s_wait_storecnt 0x0
	s_wait_xcnt 0x0
	global_atomic_cmpswap_b64 v[2:3], v53, v[2:5], s[2:3] offset:32 th:TH_ATOMIC_RETURN scope:SCOPE_SYS
	s_wait_loadcnt 0x0
	v_cmp_eq_u64_e32 vcc_lo, v[2:3], v[4:5]
	v_mov_b64_e32 v[4:5], v[2:3]
	s_or_b32 s7, vcc_lo, s7
	s_delay_alu instid0(SALU_CYCLE_1)
	s_and_not1_b32 exec_lo, exec_lo, s7
	s_cbranch_execnz .LBB3_1247
.LBB3_1248:                             ;   in Loop: Header=BB3_3 Depth=1
	s_or_b32 exec_lo, exec_lo, s6
	global_load_b64 v[2:3], v53, s[2:3] offset:16
	s_mov_b32 s7, exec_lo
	s_mov_b32 s6, exec_lo
	v_mbcnt_lo_u32_b32 v1, s7, 0
	s_wait_xcnt 0x0
	s_delay_alu instid0(VALU_DEP_1)
	v_cmpx_eq_u32_e32 0, v1
	s_cbranch_execz .LBB3_1250
; %bb.1249:                             ;   in Loop: Header=BB3_3 Depth=1
	s_bcnt1_i32_b32 s7, s7
	s_delay_alu instid0(SALU_CYCLE_1)
	v_dual_mov_b32 v5, v53 :: v_dual_mov_b32 v4, s7
	global_wb scope:SCOPE_SYS
	s_wait_loadcnt 0x0
	s_wait_storecnt 0x0
	global_atomic_add_u64 v[2:3], v[4:5], off offset:8 scope:SCOPE_SYS
.LBB3_1250:                             ;   in Loop: Header=BB3_3 Depth=1
	s_wait_xcnt 0x0
	s_or_b32 exec_lo, exec_lo, s6
	s_wait_loadcnt 0x0
	global_load_b64 v[4:5], v[2:3], off offset:16
	s_wait_loadcnt 0x0
	v_cmp_eq_u64_e32 vcc_lo, 0, v[4:5]
	s_cbranch_vccnz .LBB3_1252
; %bb.1251:                             ;   in Loop: Header=BB3_3 Depth=1
	global_load_b32 v2, v[2:3], off offset:24
	s_wait_xcnt 0x0
	v_mov_b32_e32 v3, v53
	s_wait_loadcnt 0x0
	v_readfirstlane_b32 s6, v2
	global_wb scope:SCOPE_SYS
	s_wait_storecnt 0x0
	global_store_b64 v[4:5], v[2:3], off scope:SCOPE_SYS
	s_and_b32 m0, s6, 0xffffff
	s_sendmsg sendmsg(MSG_INTERRUPT)
.LBB3_1252:                             ;   in Loop: Header=BB3_3 Depth=1
	s_wait_xcnt 0x0
	s_or_b32 exec_lo, exec_lo, s1
	v_mov_b32_e32 v23, v53
	s_delay_alu instid0(VALU_DEP_1)
	v_add_nc_u64_e32 v[2:3], v[8:9], v[22:23]
	s_branch .LBB3_1256
.LBB3_1253:                             ;   in Loop: Header=BB3_1256 Depth=2
	s_wait_xcnt 0x0
	s_or_b32 exec_lo, exec_lo, s1
	s_delay_alu instid0(VALU_DEP_1)
	v_readfirstlane_b32 s1, v1
	s_cmp_eq_u32 s1, 0
	s_cbranch_scc1 .LBB3_1255
; %bb.1254:                             ;   in Loop: Header=BB3_1256 Depth=2
	s_sleep 1
	s_cbranch_execnz .LBB3_1256
	s_branch .LBB3_1258
.LBB3_1255:                             ;   in Loop: Header=BB3_3 Depth=1
	s_branch .LBB3_1258
.LBB3_1256:                             ;   Parent Loop BB3_3 Depth=1
                                        ; =>  This Inner Loop Header: Depth=2
	v_mov_b32_e32 v1, 1
	s_and_saveexec_b32 s1, s0
	s_cbranch_execz .LBB3_1253
; %bb.1257:                             ;   in Loop: Header=BB3_1256 Depth=2
	global_load_b32 v1, v[10:11], off offset:20 scope:SCOPE_SYS
	s_wait_loadcnt 0x0
	global_inv scope:SCOPE_SYS
	v_and_b32_e32 v1, 1, v1
	s_branch .LBB3_1253
.LBB3_1258:                             ;   in Loop: Header=BB3_3 Depth=1
	global_load_b64 v[2:3], v[2:3], off
	s_wait_xcnt 0x0
	s_and_saveexec_b32 s6, s0
	s_cbranch_execz .LBB3_1262
; %bb.1259:                             ;   in Loop: Header=BB3_3 Depth=1
	s_clause 0x2
	global_load_b64 v[4:5], v53, s[2:3] offset:40
	global_load_b64 v[12:13], v53, s[2:3] offset:24 scope:SCOPE_SYS
	global_load_b64 v[6:7], v53, s[2:3]
	s_wait_loadcnt 0x2
	v_readfirstlane_b32 s8, v4
	v_readfirstlane_b32 s9, v5
	s_add_nc_u64 s[0:1], s[8:9], 1
	s_delay_alu instid0(SALU_CYCLE_1) | instskip(NEXT) | instid1(SALU_CYCLE_1)
	s_add_nc_u64 s[4:5], s[0:1], s[4:5]
	s_cmp_eq_u64 s[4:5], 0
	s_cselect_b32 s1, s1, s5
	s_cselect_b32 s0, s0, s4
	s_delay_alu instid0(SALU_CYCLE_1) | instskip(SKIP_1) | instid1(SALU_CYCLE_1)
	v_dual_mov_b32 v11, s1 :: v_dual_mov_b32 v10, s0
	s_and_b64 s[4:5], s[0:1], s[8:9]
	s_mul_u64 s[4:5], s[4:5], 24
	s_wait_loadcnt 0x0
	v_add_nc_u64_e32 v[8:9], s[4:5], v[6:7]
	global_store_b64 v[8:9], v[12:13], off
	global_wb scope:SCOPE_SYS
	s_wait_storecnt 0x0
	s_wait_xcnt 0x0
	global_atomic_cmpswap_b64 v[6:7], v53, v[10:13], s[2:3] offset:24 th:TH_ATOMIC_RETURN scope:SCOPE_SYS
	s_wait_loadcnt 0x0
	v_cmp_ne_u64_e32 vcc_lo, v[6:7], v[12:13]
	s_and_b32 exec_lo, exec_lo, vcc_lo
	s_cbranch_execz .LBB3_1262
; %bb.1260:                             ;   in Loop: Header=BB3_3 Depth=1
	s_mov_b32 s4, 0
.LBB3_1261:                             ;   Parent Loop BB3_3 Depth=1
                                        ; =>  This Inner Loop Header: Depth=2
	v_dual_mov_b32 v4, s0 :: v_dual_mov_b32 v5, s1
	s_sleep 1
	global_store_b64 v[8:9], v[6:7], off
	global_wb scope:SCOPE_SYS
	s_wait_storecnt 0x0
	s_wait_xcnt 0x0
	global_atomic_cmpswap_b64 v[4:5], v53, v[4:7], s[2:3] offset:24 th:TH_ATOMIC_RETURN scope:SCOPE_SYS
	s_wait_loadcnt 0x0
	v_cmp_eq_u64_e32 vcc_lo, v[4:5], v[6:7]
	v_mov_b64_e32 v[6:7], v[4:5]
	s_or_b32 s4, vcc_lo, s4
	s_delay_alu instid0(SALU_CYCLE_1)
	s_and_not1_b32 exec_lo, exec_lo, s4
	s_cbranch_execnz .LBB3_1261
.LBB3_1262:                             ;   in Loop: Header=BB3_3 Depth=1
	s_or_b32 exec_lo, exec_lo, s6
	v_readfirstlane_b32 s0, v80
	v_mov_b64_e32 v[4:5], 0
	s_delay_alu instid0(VALU_DEP_2)
	v_cmp_eq_u32_e64 s0, s0, v80
	s_and_saveexec_b32 s1, s0
	s_cbranch_execz .LBB3_1268
; %bb.1263:                             ;   in Loop: Header=BB3_3 Depth=1
	global_load_b64 v[6:7], v53, s[2:3] offset:24 scope:SCOPE_SYS
	s_wait_loadcnt 0x0
	global_inv scope:SCOPE_SYS
	s_clause 0x1
	global_load_b64 v[4:5], v53, s[2:3] offset:40
	global_load_b64 v[8:9], v53, s[2:3]
	s_mov_b32 s4, exec_lo
	s_wait_loadcnt 0x1
	v_and_b32_e32 v4, v4, v6
	v_and_b32_e32 v5, v5, v7
	s_delay_alu instid0(VALU_DEP_1) | instskip(SKIP_1) | instid1(VALU_DEP_1)
	v_mul_u64_e32 v[4:5], 24, v[4:5]
	s_wait_loadcnt 0x0
	v_add_nc_u64_e32 v[4:5], v[8:9], v[4:5]
	global_load_b64 v[4:5], v[4:5], off scope:SCOPE_SYS
	s_wait_xcnt 0x0
	s_wait_loadcnt 0x0
	global_atomic_cmpswap_b64 v[4:5], v53, v[4:7], s[2:3] offset:24 th:TH_ATOMIC_RETURN scope:SCOPE_SYS
	s_wait_loadcnt 0x0
	global_inv scope:SCOPE_SYS
	s_wait_xcnt 0x0
	v_cmpx_ne_u64_e64 v[4:5], v[6:7]
	s_cbranch_execz .LBB3_1267
; %bb.1264:                             ;   in Loop: Header=BB3_3 Depth=1
	s_mov_b32 s5, 0
.LBB3_1265:                             ;   Parent Loop BB3_3 Depth=1
                                        ; =>  This Inner Loop Header: Depth=2
	s_sleep 1
	s_clause 0x1
	global_load_b64 v[8:9], v53, s[2:3] offset:40
	global_load_b64 v[10:11], v53, s[2:3]
	v_mov_b64_e32 v[6:7], v[4:5]
	s_wait_loadcnt 0x1
	s_delay_alu instid0(VALU_DEP_1) | instskip(SKIP_1) | instid1(VALU_DEP_1)
	v_and_b32_e32 v1, v8, v6
	s_wait_loadcnt 0x0
	v_mad_nc_u64_u32 v[4:5], v1, 24, v[10:11]
	s_delay_alu instid0(VALU_DEP_3) | instskip(NEXT) | instid1(VALU_DEP_1)
	v_and_b32_e32 v1, v9, v7
	v_mad_u32 v5, v1, 24, v5
	global_load_b64 v[4:5], v[4:5], off scope:SCOPE_SYS
	s_wait_xcnt 0x0
	s_wait_loadcnt 0x0
	global_atomic_cmpswap_b64 v[4:5], v53, v[4:7], s[2:3] offset:24 th:TH_ATOMIC_RETURN scope:SCOPE_SYS
	s_wait_loadcnt 0x0
	global_inv scope:SCOPE_SYS
	v_cmp_eq_u64_e32 vcc_lo, v[4:5], v[6:7]
	s_or_b32 s5, vcc_lo, s5
	s_wait_xcnt 0x0
	s_and_not1_b32 exec_lo, exec_lo, s5
	s_cbranch_execnz .LBB3_1265
; %bb.1266:                             ;   in Loop: Header=BB3_3 Depth=1
	s_or_b32 exec_lo, exec_lo, s5
.LBB3_1267:                             ;   in Loop: Header=BB3_3 Depth=1
	s_delay_alu instid0(SALU_CYCLE_1)
	s_or_b32 exec_lo, exec_lo, s4
.LBB3_1268:                             ;   in Loop: Header=BB3_3 Depth=1
	s_delay_alu instid0(SALU_CYCLE_1)
	s_or_b32 exec_lo, exec_lo, s1
	s_clause 0x1
	global_load_b64 v[10:11], v53, s[2:3] offset:40
	global_load_b128 v[6:9], v53, s[2:3]
	v_readfirstlane_b32 s4, v4
	v_readfirstlane_b32 s5, v5
	s_mov_b32 s1, exec_lo
	s_wait_loadcnt 0x1
	v_and_b32_e32 v4, s4, v10
	v_and_b32_e32 v5, s5, v11
	s_delay_alu instid0(VALU_DEP_1) | instskip(SKIP_1) | instid1(VALU_DEP_1)
	v_mul_u64_e32 v[10:11], 24, v[4:5]
	s_wait_loadcnt 0x0
	v_add_nc_u64_e32 v[10:11], v[6:7], v[10:11]
	s_wait_xcnt 0x0
	s_and_saveexec_b32 s6, s0
	s_cbranch_execz .LBB3_1270
; %bb.1269:                             ;   in Loop: Header=BB3_3 Depth=1
	v_mov_b64_e32 v[14:15], v[54:55]
	v_dual_mov_b32 v12, s1 :: v_dual_mov_b32 v13, v53
	global_store_b128 v[10:11], v[12:15], off offset:8
.LBB3_1270:                             ;   in Loop: Header=BB3_3 Depth=1
	s_wait_xcnt 0x0
	s_or_b32 exec_lo, exec_lo, s6
	v_lshlrev_b64_e32 v[4:5], 12, v[4:5]
	s_mov_b32 s17, s16
	s_mov_b32 s18, s16
	;; [unrolled: 1-line block ×3, first 2 shown]
	v_mov_b64_e32 v[12:13], s[16:17]
	v_mov_b64_e32 v[14:15], s[18:19]
	v_and_or_b32 v2, 0xffffff1d, v2, 34
	v_add_nc_u64_e32 v[8:9], v[8:9], v[4:5]
	v_dual_mov_b32 v4, v0 :: v_dual_mov_b32 v5, v53
	s_delay_alu instid0(VALU_DEP_2) | instskip(NEXT) | instid1(VALU_DEP_3)
	v_readfirstlane_b32 s6, v8
	v_readfirstlane_b32 s7, v9
	s_clause 0x3
	global_store_b128 v22, v[2:5], s[6:7]
	global_store_b128 v22, v[12:15], s[6:7] offset:16
	global_store_b128 v22, v[12:15], s[6:7] offset:32
	global_store_b128 v22, v[12:15], s[6:7] offset:48
	s_wait_xcnt 0x0
	s_and_saveexec_b32 s1, s0
	s_cbranch_execz .LBB3_1278
; %bb.1271:                             ;   in Loop: Header=BB3_3 Depth=1
	s_clause 0x1
	global_load_b64 v[14:15], v53, s[2:3] offset:32 scope:SCOPE_SYS
	global_load_b64 v[0:1], v53, s[2:3] offset:40
	s_mov_b32 s6, exec_lo
	v_dual_mov_b32 v12, s4 :: v_dual_mov_b32 v13, s5
	s_wait_loadcnt 0x0
	v_and_b32_e32 v1, s5, v1
	v_and_b32_e32 v0, s4, v0
	s_delay_alu instid0(VALU_DEP_1) | instskip(NEXT) | instid1(VALU_DEP_1)
	v_mul_u64_e32 v[0:1], 24, v[0:1]
	v_add_nc_u64_e32 v[4:5], v[6:7], v[0:1]
	global_store_b64 v[4:5], v[14:15], off
	global_wb scope:SCOPE_SYS
	s_wait_storecnt 0x0
	s_wait_xcnt 0x0
	global_atomic_cmpswap_b64 v[2:3], v53, v[12:15], s[2:3] offset:32 th:TH_ATOMIC_RETURN scope:SCOPE_SYS
	s_wait_loadcnt 0x0
	v_cmpx_ne_u64_e64 v[2:3], v[14:15]
	s_cbranch_execz .LBB3_1274
; %bb.1272:                             ;   in Loop: Header=BB3_3 Depth=1
	s_mov_b32 s7, 0
.LBB3_1273:                             ;   Parent Loop BB3_3 Depth=1
                                        ; =>  This Inner Loop Header: Depth=2
	v_dual_mov_b32 v0, s4 :: v_dual_mov_b32 v1, s5
	s_sleep 1
	global_store_b64 v[4:5], v[2:3], off
	global_wb scope:SCOPE_SYS
	s_wait_storecnt 0x0
	s_wait_xcnt 0x0
	global_atomic_cmpswap_b64 v[0:1], v53, v[0:3], s[2:3] offset:32 th:TH_ATOMIC_RETURN scope:SCOPE_SYS
	s_wait_loadcnt 0x0
	v_cmp_eq_u64_e32 vcc_lo, v[0:1], v[2:3]
	v_mov_b64_e32 v[2:3], v[0:1]
	s_or_b32 s7, vcc_lo, s7
	s_delay_alu instid0(SALU_CYCLE_1)
	s_and_not1_b32 exec_lo, exec_lo, s7
	s_cbranch_execnz .LBB3_1273
.LBB3_1274:                             ;   in Loop: Header=BB3_3 Depth=1
	s_or_b32 exec_lo, exec_lo, s6
	global_load_b64 v[0:1], v53, s[2:3] offset:16
	s_mov_b32 s7, exec_lo
	s_mov_b32 s6, exec_lo
	v_mbcnt_lo_u32_b32 v2, s7, 0
	s_wait_xcnt 0x0
	s_delay_alu instid0(VALU_DEP_1)
	v_cmpx_eq_u32_e32 0, v2
	s_cbranch_execz .LBB3_1276
; %bb.1275:                             ;   in Loop: Header=BB3_3 Depth=1
	s_bcnt1_i32_b32 s7, s7
	s_delay_alu instid0(SALU_CYCLE_1)
	v_mov_b32_e32 v52, s7
	global_wb scope:SCOPE_SYS
	s_wait_loadcnt 0x0
	s_wait_storecnt 0x0
	global_atomic_add_u64 v[0:1], v[52:53], off offset:8 scope:SCOPE_SYS
.LBB3_1276:                             ;   in Loop: Header=BB3_3 Depth=1
	s_wait_xcnt 0x0
	s_or_b32 exec_lo, exec_lo, s6
	s_wait_loadcnt 0x0
	global_load_b64 v[2:3], v[0:1], off offset:16
	s_wait_loadcnt 0x0
	v_cmp_eq_u64_e32 vcc_lo, 0, v[2:3]
	s_cbranch_vccnz .LBB3_1278
; %bb.1277:                             ;   in Loop: Header=BB3_3 Depth=1
	global_load_b32 v52, v[0:1], off offset:24
	s_wait_loadcnt 0x0
	v_readfirstlane_b32 s6, v52
	global_wb scope:SCOPE_SYS
	s_wait_storecnt 0x0
	s_wait_xcnt 0x0
	global_store_b64 v[2:3], v[52:53], off scope:SCOPE_SYS
	s_and_b32 m0, s6, 0xffffff
	s_sendmsg sendmsg(MSG_INTERRUPT)
.LBB3_1278:                             ;   in Loop: Header=BB3_3 Depth=1
	s_wait_xcnt 0x0
	s_or_b32 exec_lo, exec_lo, s1
	v_mov_b32_e32 v23, v53
	s_delay_alu instid0(VALU_DEP_1)
	v_add_nc_u64_e32 v[0:1], v[8:9], v[22:23]
	s_branch .LBB3_1282
.LBB3_1279:                             ;   in Loop: Header=BB3_1282 Depth=2
	s_wait_xcnt 0x0
	s_or_b32 exec_lo, exec_lo, s1
	s_delay_alu instid0(VALU_DEP_1)
	v_readfirstlane_b32 s1, v2
	s_cmp_eq_u32 s1, 0
	s_cbranch_scc1 .LBB3_1281
; %bb.1280:                             ;   in Loop: Header=BB3_1282 Depth=2
	s_sleep 1
	s_cbranch_execnz .LBB3_1282
	s_branch .LBB3_1284
.LBB3_1281:                             ;   in Loop: Header=BB3_3 Depth=1
	s_branch .LBB3_1284
.LBB3_1282:                             ;   Parent Loop BB3_3 Depth=1
                                        ; =>  This Inner Loop Header: Depth=2
	v_mov_b32_e32 v2, 1
	s_and_saveexec_b32 s1, s0
	s_cbranch_execz .LBB3_1279
; %bb.1283:                             ;   in Loop: Header=BB3_1282 Depth=2
	global_load_b32 v2, v[10:11], off offset:20 scope:SCOPE_SYS
	s_wait_loadcnt 0x0
	global_inv scope:SCOPE_SYS
	v_and_b32_e32 v2, 1, v2
	s_branch .LBB3_1279
.LBB3_1284:                             ;   in Loop: Header=BB3_3 Depth=1
	global_load_b64 v[0:1], v[0:1], off
	s_wait_xcnt 0x0
	s_and_saveexec_b32 s6, s0
	s_cbranch_execz .LBB3_1288
; %bb.1285:                             ;   in Loop: Header=BB3_3 Depth=1
	s_clause 0x2
	global_load_b64 v[2:3], v53, s[2:3] offset:40
	global_load_b64 v[10:11], v53, s[2:3] offset:24 scope:SCOPE_SYS
	global_load_b64 v[4:5], v53, s[2:3]
	s_wait_loadcnt 0x2
	v_readfirstlane_b32 s8, v2
	v_readfirstlane_b32 s9, v3
	s_add_nc_u64 s[0:1], s[8:9], 1
	s_delay_alu instid0(SALU_CYCLE_1) | instskip(NEXT) | instid1(SALU_CYCLE_1)
	s_add_nc_u64 s[4:5], s[0:1], s[4:5]
	s_cmp_eq_u64 s[4:5], 0
	s_cselect_b32 s1, s1, s5
	s_cselect_b32 s0, s0, s4
	s_delay_alu instid0(SALU_CYCLE_1) | instskip(SKIP_1) | instid1(SALU_CYCLE_1)
	v_dual_mov_b32 v9, s1 :: v_dual_mov_b32 v8, s0
	s_and_b64 s[4:5], s[0:1], s[8:9]
	s_mul_u64 s[4:5], s[4:5], 24
	s_wait_loadcnt 0x0
	v_add_nc_u64_e32 v[6:7], s[4:5], v[4:5]
	global_store_b64 v[6:7], v[10:11], off
	global_wb scope:SCOPE_SYS
	s_wait_storecnt 0x0
	s_wait_xcnt 0x0
	global_atomic_cmpswap_b64 v[4:5], v53, v[8:11], s[2:3] offset:24 th:TH_ATOMIC_RETURN scope:SCOPE_SYS
	s_wait_loadcnt 0x0
	v_cmp_ne_u64_e32 vcc_lo, v[4:5], v[10:11]
	s_and_b32 exec_lo, exec_lo, vcc_lo
	s_cbranch_execz .LBB3_1288
; %bb.1286:                             ;   in Loop: Header=BB3_3 Depth=1
	s_mov_b32 s4, 0
.LBB3_1287:                             ;   Parent Loop BB3_3 Depth=1
                                        ; =>  This Inner Loop Header: Depth=2
	v_dual_mov_b32 v2, s0 :: v_dual_mov_b32 v3, s1
	s_sleep 1
	global_store_b64 v[6:7], v[4:5], off
	global_wb scope:SCOPE_SYS
	s_wait_storecnt 0x0
	s_wait_xcnt 0x0
	global_atomic_cmpswap_b64 v[2:3], v53, v[2:5], s[2:3] offset:24 th:TH_ATOMIC_RETURN scope:SCOPE_SYS
	s_wait_loadcnt 0x0
	v_cmp_eq_u64_e32 vcc_lo, v[2:3], v[4:5]
	v_mov_b64_e32 v[4:5], v[2:3]
	s_or_b32 s4, vcc_lo, s4
	s_delay_alu instid0(SALU_CYCLE_1)
	s_and_not1_b32 exec_lo, exec_lo, s4
	s_cbranch_execnz .LBB3_1287
.LBB3_1288:                             ;   in Loop: Header=BB3_3 Depth=1
	s_or_b32 exec_lo, exec_lo, s6
                                        ; implicit-def: $vgpr30
.LBB3_1289:                             ;   in Loop: Header=BB3_3 Depth=1
	s_and_not1_saveexec_b32 s56, s56
	s_cbranch_execz .LBB3_1502
; %bb.1290:                             ;   in Loop: Header=BB3_3 Depth=1
	flat_load_b32 v32, v[70:71]
	s_load_b64 s[2:3], s[14:15], 0x50
	v_readfirstlane_b32 s0, v80
	v_mov_b64_e32 v[4:5], 0
	s_delay_alu instid0(VALU_DEP_2)
	v_cmp_eq_u32_e64 s0, s0, v80
	s_and_saveexec_b32 s1, s0
	s_cbranch_execz .LBB3_1296
; %bb.1291:                             ;   in Loop: Header=BB3_3 Depth=1
	s_wait_kmcnt 0x0
	global_load_b64 v[2:3], v53, s[2:3] offset:24 scope:SCOPE_SYS
	s_wait_loadcnt 0x0
	global_inv scope:SCOPE_SYS
	s_clause 0x1
	global_load_b64 v[0:1], v53, s[2:3] offset:40
	global_load_b64 v[4:5], v53, s[2:3]
	s_mov_b32 s4, exec_lo
	s_wait_loadcnt 0x1
	v_and_b32_e32 v0, v0, v2
	v_and_b32_e32 v1, v1, v3
	s_delay_alu instid0(VALU_DEP_1) | instskip(SKIP_1) | instid1(VALU_DEP_1)
	v_mul_u64_e32 v[0:1], 24, v[0:1]
	s_wait_loadcnt 0x0
	v_add_nc_u64_e32 v[0:1], v[4:5], v[0:1]
	global_load_b64 v[0:1], v[0:1], off scope:SCOPE_SYS
	s_wait_xcnt 0x0
	s_wait_loadcnt 0x0
	global_atomic_cmpswap_b64 v[4:5], v53, v[0:3], s[2:3] offset:24 th:TH_ATOMIC_RETURN scope:SCOPE_SYS
	s_wait_loadcnt 0x0
	global_inv scope:SCOPE_SYS
	s_wait_xcnt 0x0
	v_cmpx_ne_u64_e64 v[4:5], v[2:3]
	s_cbranch_execz .LBB3_1295
; %bb.1292:                             ;   in Loop: Header=BB3_3 Depth=1
	s_mov_b32 s5, 0
.LBB3_1293:                             ;   Parent Loop BB3_3 Depth=1
                                        ; =>  This Inner Loop Header: Depth=2
	s_sleep 1
	s_clause 0x1
	global_load_b64 v[0:1], v53, s[2:3] offset:40
	global_load_b64 v[6:7], v53, s[2:3]
	v_mov_b64_e32 v[2:3], v[4:5]
	s_wait_loadcnt 0x1
	s_delay_alu instid0(VALU_DEP_1) | instskip(SKIP_1) | instid1(VALU_DEP_1)
	v_and_b32_e32 v0, v0, v2
	s_wait_loadcnt 0x0
	v_mad_nc_u64_u32 v[4:5], v0, 24, v[6:7]
	s_delay_alu instid0(VALU_DEP_3) | instskip(NEXT) | instid1(VALU_DEP_1)
	v_and_b32_e32 v0, v1, v3
	v_mad_u32 v5, v0, 24, v5
	global_load_b64 v[0:1], v[4:5], off scope:SCOPE_SYS
	s_wait_xcnt 0x0
	s_wait_loadcnt 0x0
	global_atomic_cmpswap_b64 v[4:5], v53, v[0:3], s[2:3] offset:24 th:TH_ATOMIC_RETURN scope:SCOPE_SYS
	s_wait_loadcnt 0x0
	global_inv scope:SCOPE_SYS
	v_cmp_eq_u64_e32 vcc_lo, v[4:5], v[2:3]
	s_or_b32 s5, vcc_lo, s5
	s_wait_xcnt 0x0
	s_and_not1_b32 exec_lo, exec_lo, s5
	s_cbranch_execnz .LBB3_1293
; %bb.1294:                             ;   in Loop: Header=BB3_3 Depth=1
	s_or_b32 exec_lo, exec_lo, s5
.LBB3_1295:                             ;   in Loop: Header=BB3_3 Depth=1
	s_delay_alu instid0(SALU_CYCLE_1)
	s_or_b32 exec_lo, exec_lo, s4
.LBB3_1296:                             ;   in Loop: Header=BB3_3 Depth=1
	s_delay_alu instid0(SALU_CYCLE_1)
	s_or_b32 exec_lo, exec_lo, s1
	s_wait_kmcnt 0x0
	global_load_b64 v[6:7], v53, s[2:3] offset:40
	s_wait_loadcnt 0x2
	global_load_b128 v[0:3], v53, s[2:3]
	v_readfirstlane_b32 s4, v4
	v_readfirstlane_b32 s5, v5
	s_mov_b32 s1, exec_lo
	s_wait_loadcnt 0x1
	v_and_b32_e32 v6, s4, v6
	v_and_b32_e32 v7, s5, v7
	s_delay_alu instid0(VALU_DEP_1) | instskip(SKIP_1) | instid1(VALU_DEP_1)
	v_mul_u64_e32 v[4:5], 24, v[6:7]
	s_wait_loadcnt 0x0
	v_add_nc_u64_e32 v[4:5], v[0:1], v[4:5]
	s_wait_xcnt 0x0
	s_and_saveexec_b32 s6, s0
	s_cbranch_execz .LBB3_1298
; %bb.1297:                             ;   in Loop: Header=BB3_3 Depth=1
	v_mov_b32_e32 v52, s1
	global_store_b128 v[4:5], v[52:55], off offset:8
.LBB3_1298:                             ;   in Loop: Header=BB3_3 Depth=1
	s_wait_xcnt 0x0
	s_or_b32 exec_lo, exec_lo, s6
	v_lshlrev_b64_e32 v[6:7], 12, v[6:7]
	s_mov_b32 s17, s16
	s_mov_b32 s18, s16
	;; [unrolled: 1-line block ×3, first 2 shown]
	v_mov_b64_e32 v[8:9], s[16:17]
	v_mov_b64_e32 v[10:11], s[18:19]
	v_dual_mov_b32 v65, v53 :: v_dual_lshlrev_b32 v22, 6, v80
	v_add_nc_u64_e32 v[6:7], v[2:3], v[6:7]
	v_dual_mov_b32 v66, v53 :: v_dual_mov_b32 v67, v53
	s_delay_alu instid0(VALU_DEP_2) | instskip(NEXT) | instid1(VALU_DEP_3)
	v_readfirstlane_b32 s6, v6
	v_readfirstlane_b32 s7, v7
	s_clause 0x3
	global_store_b128 v22, v[64:67], s[6:7]
	global_store_b128 v22, v[8:11], s[6:7] offset:16
	global_store_b128 v22, v[8:11], s[6:7] offset:32
	;; [unrolled: 1-line block ×3, first 2 shown]
	s_wait_xcnt 0x0
	s_and_saveexec_b32 s1, s0
	s_cbranch_execz .LBB3_1306
; %bb.1299:                             ;   in Loop: Header=BB3_3 Depth=1
	s_clause 0x1
	global_load_b64 v[12:13], v53, s[2:3] offset:32 scope:SCOPE_SYS
	global_load_b64 v[2:3], v53, s[2:3] offset:40
	s_mov_b32 s6, exec_lo
	v_dual_mov_b32 v10, s4 :: v_dual_mov_b32 v11, s5
	s_wait_loadcnt 0x0
	v_and_b32_e32 v3, s5, v3
	v_and_b32_e32 v2, s4, v2
	s_delay_alu instid0(VALU_DEP_1) | instskip(NEXT) | instid1(VALU_DEP_1)
	v_mul_u64_e32 v[2:3], 24, v[2:3]
	v_add_nc_u64_e32 v[8:9], v[0:1], v[2:3]
	global_store_b64 v[8:9], v[12:13], off
	global_wb scope:SCOPE_SYS
	s_wait_storecnt 0x0
	s_wait_xcnt 0x0
	global_atomic_cmpswap_b64 v[2:3], v53, v[10:13], s[2:3] offset:32 th:TH_ATOMIC_RETURN scope:SCOPE_SYS
	s_wait_loadcnt 0x0
	v_cmpx_ne_u64_e64 v[2:3], v[12:13]
	s_cbranch_execz .LBB3_1302
; %bb.1300:                             ;   in Loop: Header=BB3_3 Depth=1
	s_mov_b32 s7, 0
.LBB3_1301:                             ;   Parent Loop BB3_3 Depth=1
                                        ; =>  This Inner Loop Header: Depth=2
	v_dual_mov_b32 v0, s4 :: v_dual_mov_b32 v1, s5
	s_sleep 1
	global_store_b64 v[8:9], v[2:3], off
	global_wb scope:SCOPE_SYS
	s_wait_storecnt 0x0
	s_wait_xcnt 0x0
	global_atomic_cmpswap_b64 v[0:1], v53, v[0:3], s[2:3] offset:32 th:TH_ATOMIC_RETURN scope:SCOPE_SYS
	s_wait_loadcnt 0x0
	v_cmp_eq_u64_e32 vcc_lo, v[0:1], v[2:3]
	v_mov_b64_e32 v[2:3], v[0:1]
	s_or_b32 s7, vcc_lo, s7
	s_delay_alu instid0(SALU_CYCLE_1)
	s_and_not1_b32 exec_lo, exec_lo, s7
	s_cbranch_execnz .LBB3_1301
.LBB3_1302:                             ;   in Loop: Header=BB3_3 Depth=1
	s_or_b32 exec_lo, exec_lo, s6
	global_load_b64 v[0:1], v53, s[2:3] offset:16
	s_mov_b32 s7, exec_lo
	s_mov_b32 s6, exec_lo
	v_mbcnt_lo_u32_b32 v2, s7, 0
	s_wait_xcnt 0x0
	s_delay_alu instid0(VALU_DEP_1)
	v_cmpx_eq_u32_e32 0, v2
	s_cbranch_execz .LBB3_1304
; %bb.1303:                             ;   in Loop: Header=BB3_3 Depth=1
	s_bcnt1_i32_b32 s7, s7
	s_delay_alu instid0(SALU_CYCLE_1)
	v_mov_b32_e32 v52, s7
	global_wb scope:SCOPE_SYS
	s_wait_loadcnt 0x0
	s_wait_storecnt 0x0
	global_atomic_add_u64 v[0:1], v[52:53], off offset:8 scope:SCOPE_SYS
.LBB3_1304:                             ;   in Loop: Header=BB3_3 Depth=1
	s_wait_xcnt 0x0
	s_or_b32 exec_lo, exec_lo, s6
	s_wait_loadcnt 0x0
	global_load_b64 v[2:3], v[0:1], off offset:16
	s_wait_loadcnt 0x0
	v_cmp_eq_u64_e32 vcc_lo, 0, v[2:3]
	s_cbranch_vccnz .LBB3_1306
; %bb.1305:                             ;   in Loop: Header=BB3_3 Depth=1
	global_load_b32 v52, v[0:1], off offset:24
	s_wait_loadcnt 0x0
	v_readfirstlane_b32 s6, v52
	global_wb scope:SCOPE_SYS
	s_wait_storecnt 0x0
	s_wait_xcnt 0x0
	global_store_b64 v[2:3], v[52:53], off scope:SCOPE_SYS
	s_and_b32 m0, s6, 0xffffff
	s_sendmsg sendmsg(MSG_INTERRUPT)
.LBB3_1306:                             ;   in Loop: Header=BB3_3 Depth=1
	s_wait_xcnt 0x0
	s_or_b32 exec_lo, exec_lo, s1
	v_mov_b32_e32 v23, v53
	s_delay_alu instid0(VALU_DEP_1)
	v_add_nc_u64_e32 v[0:1], v[6:7], v[22:23]
	s_branch .LBB3_1310
.LBB3_1307:                             ;   in Loop: Header=BB3_1310 Depth=2
	s_wait_xcnt 0x0
	s_or_b32 exec_lo, exec_lo, s1
	s_delay_alu instid0(VALU_DEP_1)
	v_readfirstlane_b32 s1, v2
	s_cmp_eq_u32 s1, 0
	s_cbranch_scc1 .LBB3_1309
; %bb.1308:                             ;   in Loop: Header=BB3_1310 Depth=2
	s_sleep 1
	s_cbranch_execnz .LBB3_1310
	s_branch .LBB3_1312
.LBB3_1309:                             ;   in Loop: Header=BB3_3 Depth=1
	s_branch .LBB3_1312
.LBB3_1310:                             ;   Parent Loop BB3_3 Depth=1
                                        ; =>  This Inner Loop Header: Depth=2
	v_mov_b32_e32 v2, 1
	s_and_saveexec_b32 s1, s0
	s_cbranch_execz .LBB3_1307
; %bb.1311:                             ;   in Loop: Header=BB3_1310 Depth=2
	global_load_b32 v2, v[4:5], off offset:20 scope:SCOPE_SYS
	s_wait_loadcnt 0x0
	global_inv scope:SCOPE_SYS
	v_and_b32_e32 v2, 1, v2
	s_branch .LBB3_1307
.LBB3_1312:                             ;   in Loop: Header=BB3_3 Depth=1
	global_load_b64 v[0:1], v[0:1], off
	s_wait_xcnt 0x0
	s_and_saveexec_b32 s6, s0
	s_cbranch_execz .LBB3_1316
; %bb.1313:                             ;   in Loop: Header=BB3_3 Depth=1
	s_clause 0x2
	global_load_b64 v[2:3], v53, s[2:3] offset:40
	global_load_b64 v[10:11], v53, s[2:3] offset:24 scope:SCOPE_SYS
	global_load_b64 v[4:5], v53, s[2:3]
	s_wait_loadcnt 0x2
	v_readfirstlane_b32 s8, v2
	v_readfirstlane_b32 s9, v3
	s_add_nc_u64 s[0:1], s[8:9], 1
	s_delay_alu instid0(SALU_CYCLE_1) | instskip(NEXT) | instid1(SALU_CYCLE_1)
	s_add_nc_u64 s[4:5], s[0:1], s[4:5]
	s_cmp_eq_u64 s[4:5], 0
	s_cselect_b32 s1, s1, s5
	s_cselect_b32 s0, s0, s4
	s_delay_alu instid0(SALU_CYCLE_1) | instskip(SKIP_1) | instid1(SALU_CYCLE_1)
	v_dual_mov_b32 v9, s1 :: v_dual_mov_b32 v8, s0
	s_and_b64 s[4:5], s[0:1], s[8:9]
	s_mul_u64 s[4:5], s[4:5], 24
	s_wait_loadcnt 0x0
	v_add_nc_u64_e32 v[6:7], s[4:5], v[4:5]
	global_store_b64 v[6:7], v[10:11], off
	global_wb scope:SCOPE_SYS
	s_wait_storecnt 0x0
	s_wait_xcnt 0x0
	global_atomic_cmpswap_b64 v[4:5], v53, v[8:11], s[2:3] offset:24 th:TH_ATOMIC_RETURN scope:SCOPE_SYS
	s_wait_loadcnt 0x0
	v_cmp_ne_u64_e32 vcc_lo, v[4:5], v[10:11]
	s_and_b32 exec_lo, exec_lo, vcc_lo
	s_cbranch_execz .LBB3_1316
; %bb.1314:                             ;   in Loop: Header=BB3_3 Depth=1
	s_mov_b32 s4, 0
.LBB3_1315:                             ;   Parent Loop BB3_3 Depth=1
                                        ; =>  This Inner Loop Header: Depth=2
	v_dual_mov_b32 v2, s0 :: v_dual_mov_b32 v3, s1
	s_sleep 1
	global_store_b64 v[6:7], v[4:5], off
	global_wb scope:SCOPE_SYS
	s_wait_storecnt 0x0
	s_wait_xcnt 0x0
	global_atomic_cmpswap_b64 v[2:3], v53, v[2:5], s[2:3] offset:24 th:TH_ATOMIC_RETURN scope:SCOPE_SYS
	s_wait_loadcnt 0x0
	v_cmp_eq_u64_e32 vcc_lo, v[2:3], v[4:5]
	v_mov_b64_e32 v[4:5], v[2:3]
	s_or_b32 s4, vcc_lo, s4
	s_delay_alu instid0(SALU_CYCLE_1)
	s_and_not1_b32 exec_lo, exec_lo, s4
	s_cbranch_execnz .LBB3_1315
.LBB3_1316:                             ;   in Loop: Header=BB3_3 Depth=1
	s_or_b32 exec_lo, exec_lo, s6
	s_delay_alu instid0(SALU_CYCLE_1)
	s_and_b32 vcc_lo, exec_lo, s72
	s_cbranch_vccz .LBB3_1395
; %bb.1317:                             ;   in Loop: Header=BB3_3 Depth=1
	s_wait_loadcnt 0x0
	v_dual_mov_b32 v3, v1 :: v_dual_bitop2_b32 v24, 2, v0 bitop3:0x40
	v_and_b32_e32 v2, -3, v0
	s_mov_b64 s[4:5], 35
	s_mov_b64 s[6:7], s[40:41]
	s_branch .LBB3_1319
.LBB3_1318:                             ;   in Loop: Header=BB3_1319 Depth=2
	s_or_b32 exec_lo, exec_lo, s12
	s_sub_nc_u64 s[4:5], s[4:5], s[8:9]
	s_add_nc_u64 s[6:7], s[6:7], s[8:9]
	s_cmp_lg_u64 s[4:5], 0
	s_cbranch_scc0 .LBB3_1394
.LBB3_1319:                             ;   Parent Loop BB3_3 Depth=1
                                        ; =>  This Loop Header: Depth=2
                                        ;       Child Loop BB3_1322 Depth 3
                                        ;       Child Loop BB3_1329 Depth 3
	;; [unrolled: 1-line block ×11, first 2 shown]
	v_min_u64 v[4:5], s[4:5], 56
	v_cmp_gt_u64_e64 s0, s[4:5], 7
	s_and_b32 vcc_lo, exec_lo, s0
	v_readfirstlane_b32 s8, v4
	v_readfirstlane_b32 s9, v5
	s_cbranch_vccnz .LBB3_1324
; %bb.1320:                             ;   in Loop: Header=BB3_1319 Depth=2
	v_mov_b64_e32 v[4:5], 0
	s_cmp_eq_u64 s[4:5], 0
	s_cbranch_scc1 .LBB3_1323
; %bb.1321:                             ;   in Loop: Header=BB3_1319 Depth=2
	s_mov_b64 s[0:1], 0
	s_mov_b64 s[10:11], 0
.LBB3_1322:                             ;   Parent Loop BB3_3 Depth=1
                                        ;     Parent Loop BB3_1319 Depth=2
                                        ; =>    This Inner Loop Header: Depth=3
	s_wait_xcnt 0x0
	s_add_nc_u64 s[12:13], s[6:7], s[10:11]
	s_add_nc_u64 s[10:11], s[10:11], 1
	global_load_u8 v6, v53, s[12:13]
	s_cmp_lg_u32 s8, s10
	s_wait_loadcnt 0x0
	v_and_b32_e32 v52, 0xffff, v6
	s_delay_alu instid0(VALU_DEP_1) | instskip(SKIP_1) | instid1(VALU_DEP_1)
	v_lshlrev_b64_e32 v[6:7], s0, v[52:53]
	s_add_nc_u64 s[0:1], s[0:1], 8
	v_or_b32_e32 v4, v6, v4
	s_delay_alu instid0(VALU_DEP_2)
	v_or_b32_e32 v5, v7, v5
	s_cbranch_scc1 .LBB3_1322
.LBB3_1323:                             ;   in Loop: Header=BB3_1319 Depth=2
	s_mov_b64 s[0:1], s[6:7]
	s_mov_b32 s17, 0
	s_cbranch_execz .LBB3_1325
	s_branch .LBB3_1326
.LBB3_1324:                             ;   in Loop: Header=BB3_1319 Depth=2
	s_add_nc_u64 s[0:1], s[6:7], 8
	s_mov_b32 s17, 0
.LBB3_1325:                             ;   in Loop: Header=BB3_1319 Depth=2
	global_load_b64 v[4:5], v53, s[6:7]
	s_add_co_i32 s17, s8, -8
.LBB3_1326:                             ;   in Loop: Header=BB3_1319 Depth=2
	s_delay_alu instid0(SALU_CYCLE_1)
	s_cmp_gt_u32 s17, 7
	s_cbranch_scc1 .LBB3_1331
; %bb.1327:                             ;   in Loop: Header=BB3_1319 Depth=2
	v_mov_b64_e32 v[6:7], 0
	s_cmp_eq_u32 s17, 0
	s_cbranch_scc1 .LBB3_1330
; %bb.1328:                             ;   in Loop: Header=BB3_1319 Depth=2
	s_mov_b64 s[10:11], 0
	s_wait_xcnt 0x0
	s_mov_b64 s[12:13], 0
.LBB3_1329:                             ;   Parent Loop BB3_3 Depth=1
                                        ;     Parent Loop BB3_1319 Depth=2
                                        ; =>    This Inner Loop Header: Depth=3
	s_wait_xcnt 0x0
	s_add_nc_u64 s[18:19], s[0:1], s[12:13]
	s_add_nc_u64 s[12:13], s[12:13], 1
	global_load_u8 v8, v53, s[18:19]
	s_cmp_lg_u32 s17, s12
	s_wait_loadcnt 0x0
	v_and_b32_e32 v52, 0xffff, v8
	s_delay_alu instid0(VALU_DEP_1) | instskip(SKIP_1) | instid1(VALU_DEP_1)
	v_lshlrev_b64_e32 v[8:9], s10, v[52:53]
	s_add_nc_u64 s[10:11], s[10:11], 8
	v_or_b32_e32 v6, v8, v6
	s_delay_alu instid0(VALU_DEP_2)
	v_or_b32_e32 v7, v9, v7
	s_cbranch_scc1 .LBB3_1329
.LBB3_1330:                             ;   in Loop: Header=BB3_1319 Depth=2
	s_wait_xcnt 0x0
	s_mov_b64 s[10:11], s[0:1]
	s_mov_b32 s18, 0
	s_cbranch_execz .LBB3_1332
	s_branch .LBB3_1333
.LBB3_1331:                             ;   in Loop: Header=BB3_1319 Depth=2
	s_add_nc_u64 s[10:11], s[0:1], 8
	s_wait_xcnt 0x0
                                        ; implicit-def: $vgpr6_vgpr7
	s_mov_b32 s18, 0
.LBB3_1332:                             ;   in Loop: Header=BB3_1319 Depth=2
	global_load_b64 v[6:7], v53, s[0:1]
	s_add_co_i32 s18, s17, -8
.LBB3_1333:                             ;   in Loop: Header=BB3_1319 Depth=2
	s_delay_alu instid0(SALU_CYCLE_1)
	s_cmp_gt_u32 s18, 7
	s_cbranch_scc1 .LBB3_1338
; %bb.1334:                             ;   in Loop: Header=BB3_1319 Depth=2
	v_mov_b64_e32 v[8:9], 0
	s_cmp_eq_u32 s18, 0
	s_cbranch_scc1 .LBB3_1337
; %bb.1335:                             ;   in Loop: Header=BB3_1319 Depth=2
	s_wait_xcnt 0x0
	s_mov_b64 s[0:1], 0
	s_mov_b64 s[12:13], 0
.LBB3_1336:                             ;   Parent Loop BB3_3 Depth=1
                                        ;     Parent Loop BB3_1319 Depth=2
                                        ; =>    This Inner Loop Header: Depth=3
	s_wait_xcnt 0x0
	s_add_nc_u64 s[30:31], s[10:11], s[12:13]
	s_add_nc_u64 s[12:13], s[12:13], 1
	global_load_u8 v10, v53, s[30:31]
	s_cmp_lg_u32 s18, s12
	s_wait_loadcnt 0x0
	v_and_b32_e32 v52, 0xffff, v10
	s_delay_alu instid0(VALU_DEP_1) | instskip(SKIP_1) | instid1(VALU_DEP_1)
	v_lshlrev_b64_e32 v[10:11], s0, v[52:53]
	s_add_nc_u64 s[0:1], s[0:1], 8
	v_or_b32_e32 v8, v10, v8
	s_delay_alu instid0(VALU_DEP_2)
	v_or_b32_e32 v9, v11, v9
	s_cbranch_scc1 .LBB3_1336
.LBB3_1337:                             ;   in Loop: Header=BB3_1319 Depth=2
	s_wait_xcnt 0x0
	s_mov_b64 s[0:1], s[10:11]
	s_mov_b32 s17, 0
	s_cbranch_execz .LBB3_1339
	s_branch .LBB3_1340
.LBB3_1338:                             ;   in Loop: Header=BB3_1319 Depth=2
	s_wait_xcnt 0x0
	s_add_nc_u64 s[0:1], s[10:11], 8
	s_mov_b32 s17, 0
.LBB3_1339:                             ;   in Loop: Header=BB3_1319 Depth=2
	global_load_b64 v[8:9], v53, s[10:11]
	s_add_co_i32 s17, s18, -8
.LBB3_1340:                             ;   in Loop: Header=BB3_1319 Depth=2
	s_delay_alu instid0(SALU_CYCLE_1)
	s_cmp_gt_u32 s17, 7
	s_cbranch_scc1 .LBB3_1345
; %bb.1341:                             ;   in Loop: Header=BB3_1319 Depth=2
	v_mov_b64_e32 v[10:11], 0
	s_cmp_eq_u32 s17, 0
	s_cbranch_scc1 .LBB3_1344
; %bb.1342:                             ;   in Loop: Header=BB3_1319 Depth=2
	s_wait_xcnt 0x0
	s_mov_b64 s[10:11], 0
	s_mov_b64 s[12:13], 0
.LBB3_1343:                             ;   Parent Loop BB3_3 Depth=1
                                        ;     Parent Loop BB3_1319 Depth=2
                                        ; =>    This Inner Loop Header: Depth=3
	s_wait_xcnt 0x0
	s_add_nc_u64 s[18:19], s[0:1], s[12:13]
	s_add_nc_u64 s[12:13], s[12:13], 1
	global_load_u8 v12, v53, s[18:19]
	s_cmp_lg_u32 s17, s12
	s_wait_loadcnt 0x0
	v_and_b32_e32 v52, 0xffff, v12
	s_delay_alu instid0(VALU_DEP_1) | instskip(SKIP_1) | instid1(VALU_DEP_1)
	v_lshlrev_b64_e32 v[12:13], s10, v[52:53]
	s_add_nc_u64 s[10:11], s[10:11], 8
	v_or_b32_e32 v10, v12, v10
	s_delay_alu instid0(VALU_DEP_2)
	v_or_b32_e32 v11, v13, v11
	s_cbranch_scc1 .LBB3_1343
.LBB3_1344:                             ;   in Loop: Header=BB3_1319 Depth=2
	s_wait_xcnt 0x0
	s_mov_b64 s[10:11], s[0:1]
	s_mov_b32 s18, 0
	s_cbranch_execz .LBB3_1346
	s_branch .LBB3_1347
.LBB3_1345:                             ;   in Loop: Header=BB3_1319 Depth=2
	s_wait_xcnt 0x0
	s_add_nc_u64 s[10:11], s[0:1], 8
                                        ; implicit-def: $vgpr10_vgpr11
	s_mov_b32 s18, 0
.LBB3_1346:                             ;   in Loop: Header=BB3_1319 Depth=2
	global_load_b64 v[10:11], v53, s[0:1]
	s_add_co_i32 s18, s17, -8
.LBB3_1347:                             ;   in Loop: Header=BB3_1319 Depth=2
	s_delay_alu instid0(SALU_CYCLE_1)
	s_cmp_gt_u32 s18, 7
	s_cbranch_scc1 .LBB3_1352
; %bb.1348:                             ;   in Loop: Header=BB3_1319 Depth=2
	v_mov_b64_e32 v[12:13], 0
	s_cmp_eq_u32 s18, 0
	s_cbranch_scc1 .LBB3_1351
; %bb.1349:                             ;   in Loop: Header=BB3_1319 Depth=2
	s_wait_xcnt 0x0
	s_mov_b64 s[0:1], 0
	s_mov_b64 s[12:13], 0
.LBB3_1350:                             ;   Parent Loop BB3_3 Depth=1
                                        ;     Parent Loop BB3_1319 Depth=2
                                        ; =>    This Inner Loop Header: Depth=3
	s_wait_xcnt 0x0
	s_add_nc_u64 s[30:31], s[10:11], s[12:13]
	s_add_nc_u64 s[12:13], s[12:13], 1
	global_load_u8 v14, v53, s[30:31]
	s_cmp_lg_u32 s18, s12
	s_wait_loadcnt 0x0
	v_and_b32_e32 v52, 0xffff, v14
	s_delay_alu instid0(VALU_DEP_1) | instskip(SKIP_1) | instid1(VALU_DEP_1)
	v_lshlrev_b64_e32 v[14:15], s0, v[52:53]
	s_add_nc_u64 s[0:1], s[0:1], 8
	v_or_b32_e32 v12, v14, v12
	s_delay_alu instid0(VALU_DEP_2)
	v_or_b32_e32 v13, v15, v13
	s_cbranch_scc1 .LBB3_1350
.LBB3_1351:                             ;   in Loop: Header=BB3_1319 Depth=2
	s_wait_xcnt 0x0
	s_mov_b64 s[0:1], s[10:11]
	s_mov_b32 s17, 0
	s_cbranch_execz .LBB3_1353
	s_branch .LBB3_1354
.LBB3_1352:                             ;   in Loop: Header=BB3_1319 Depth=2
	s_wait_xcnt 0x0
	s_add_nc_u64 s[0:1], s[10:11], 8
	s_mov_b32 s17, 0
.LBB3_1353:                             ;   in Loop: Header=BB3_1319 Depth=2
	global_load_b64 v[12:13], v53, s[10:11]
	s_add_co_i32 s17, s18, -8
.LBB3_1354:                             ;   in Loop: Header=BB3_1319 Depth=2
	s_delay_alu instid0(SALU_CYCLE_1)
	s_cmp_gt_u32 s17, 7
	s_cbranch_scc1 .LBB3_1359
; %bb.1355:                             ;   in Loop: Header=BB3_1319 Depth=2
	v_mov_b64_e32 v[14:15], 0
	s_cmp_eq_u32 s17, 0
	s_cbranch_scc1 .LBB3_1358
; %bb.1356:                             ;   in Loop: Header=BB3_1319 Depth=2
	s_wait_xcnt 0x0
	s_mov_b64 s[10:11], 0
	s_mov_b64 s[12:13], 0
.LBB3_1357:                             ;   Parent Loop BB3_3 Depth=1
                                        ;     Parent Loop BB3_1319 Depth=2
                                        ; =>    This Inner Loop Header: Depth=3
	s_wait_xcnt 0x0
	s_add_nc_u64 s[18:19], s[0:1], s[12:13]
	s_add_nc_u64 s[12:13], s[12:13], 1
	global_load_u8 v16, v53, s[18:19]
	s_cmp_lg_u32 s17, s12
	s_wait_loadcnt 0x0
	v_and_b32_e32 v52, 0xffff, v16
	s_delay_alu instid0(VALU_DEP_1) | instskip(SKIP_1) | instid1(VALU_DEP_1)
	v_lshlrev_b64_e32 v[16:17], s10, v[52:53]
	s_add_nc_u64 s[10:11], s[10:11], 8
	v_or_b32_e32 v14, v16, v14
	s_delay_alu instid0(VALU_DEP_2)
	v_or_b32_e32 v15, v17, v15
	s_cbranch_scc1 .LBB3_1357
.LBB3_1358:                             ;   in Loop: Header=BB3_1319 Depth=2
	s_wait_xcnt 0x0
	s_mov_b64 s[10:11], s[0:1]
	s_mov_b32 s18, 0
	s_cbranch_execz .LBB3_1360
	s_branch .LBB3_1361
.LBB3_1359:                             ;   in Loop: Header=BB3_1319 Depth=2
	s_wait_xcnt 0x0
	s_add_nc_u64 s[10:11], s[0:1], 8
                                        ; implicit-def: $vgpr14_vgpr15
	s_mov_b32 s18, 0
.LBB3_1360:                             ;   in Loop: Header=BB3_1319 Depth=2
	global_load_b64 v[14:15], v53, s[0:1]
	s_add_co_i32 s18, s17, -8
.LBB3_1361:                             ;   in Loop: Header=BB3_1319 Depth=2
	s_delay_alu instid0(SALU_CYCLE_1)
	s_cmp_gt_u32 s18, 7
	s_cbranch_scc1 .LBB3_1366
; %bb.1362:                             ;   in Loop: Header=BB3_1319 Depth=2
	v_mov_b64_e32 v[16:17], 0
	s_cmp_eq_u32 s18, 0
	s_cbranch_scc1 .LBB3_1365
; %bb.1363:                             ;   in Loop: Header=BB3_1319 Depth=2
	s_wait_xcnt 0x0
	s_mov_b64 s[0:1], 0
	s_mov_b64 s[12:13], s[10:11]
.LBB3_1364:                             ;   Parent Loop BB3_3 Depth=1
                                        ;     Parent Loop BB3_1319 Depth=2
                                        ; =>    This Inner Loop Header: Depth=3
	global_load_u8 v18, v53, s[12:13]
	s_add_co_i32 s18, s18, -1
	s_wait_xcnt 0x0
	s_add_nc_u64 s[12:13], s[12:13], 1
	s_cmp_lg_u32 s18, 0
	s_wait_loadcnt 0x0
	v_and_b32_e32 v52, 0xffff, v18
	s_delay_alu instid0(VALU_DEP_1) | instskip(SKIP_1) | instid1(VALU_DEP_1)
	v_lshlrev_b64_e32 v[18:19], s0, v[52:53]
	s_add_nc_u64 s[0:1], s[0:1], 8
	v_or_b32_e32 v16, v18, v16
	s_delay_alu instid0(VALU_DEP_2)
	v_or_b32_e32 v17, v19, v17
	s_cbranch_scc1 .LBB3_1364
.LBB3_1365:                             ;   in Loop: Header=BB3_1319 Depth=2
	s_wait_xcnt 0x0
	s_cbranch_execz .LBB3_1367
	s_branch .LBB3_1368
.LBB3_1366:                             ;   in Loop: Header=BB3_1319 Depth=2
	s_wait_xcnt 0x0
.LBB3_1367:                             ;   in Loop: Header=BB3_1319 Depth=2
	global_load_b64 v[16:17], v53, s[10:11]
.LBB3_1368:                             ;   in Loop: Header=BB3_1319 Depth=2
	v_readfirstlane_b32 s0, v80
	v_mov_b64_e32 v[26:27], 0
	s_delay_alu instid0(VALU_DEP_2)
	v_cmp_eq_u32_e64 s0, s0, v80
	s_wait_xcnt 0x0
	s_and_saveexec_b32 s1, s0
	s_cbranch_execz .LBB3_1374
; %bb.1369:                             ;   in Loop: Header=BB3_1319 Depth=2
	global_load_b64 v[20:21], v53, s[2:3] offset:24 scope:SCOPE_SYS
	s_wait_loadcnt 0x0
	global_inv scope:SCOPE_SYS
	s_clause 0x1
	global_load_b64 v[18:19], v53, s[2:3] offset:40
	global_load_b64 v[26:27], v53, s[2:3]
	s_mov_b32 s10, exec_lo
	s_wait_loadcnt 0x1
	v_and_b32_e32 v18, v18, v20
	v_and_b32_e32 v19, v19, v21
	s_delay_alu instid0(VALU_DEP_1) | instskip(SKIP_1) | instid1(VALU_DEP_1)
	v_mul_u64_e32 v[18:19], 24, v[18:19]
	s_wait_loadcnt 0x0
	v_add_nc_u64_e32 v[18:19], v[26:27], v[18:19]
	global_load_b64 v[18:19], v[18:19], off scope:SCOPE_SYS
	s_wait_xcnt 0x0
	s_wait_loadcnt 0x0
	global_atomic_cmpswap_b64 v[26:27], v53, v[18:21], s[2:3] offset:24 th:TH_ATOMIC_RETURN scope:SCOPE_SYS
	s_wait_loadcnt 0x0
	global_inv scope:SCOPE_SYS
	s_wait_xcnt 0x0
	v_cmpx_ne_u64_e64 v[26:27], v[20:21]
	s_cbranch_execz .LBB3_1373
; %bb.1370:                             ;   in Loop: Header=BB3_1319 Depth=2
	s_mov_b32 s11, 0
.LBB3_1371:                             ;   Parent Loop BB3_3 Depth=1
                                        ;     Parent Loop BB3_1319 Depth=2
                                        ; =>    This Inner Loop Header: Depth=3
	s_sleep 1
	s_clause 0x1
	global_load_b64 v[18:19], v53, s[2:3] offset:40
	global_load_b64 v[28:29], v53, s[2:3]
	v_mov_b64_e32 v[20:21], v[26:27]
	s_wait_loadcnt 0x1
	s_delay_alu instid0(VALU_DEP_1) | instskip(SKIP_1) | instid1(VALU_DEP_1)
	v_and_b32_e32 v18, v18, v20
	s_wait_loadcnt 0x0
	v_mad_nc_u64_u32 v[26:27], v18, 24, v[28:29]
	s_delay_alu instid0(VALU_DEP_3) | instskip(NEXT) | instid1(VALU_DEP_1)
	v_and_b32_e32 v18, v19, v21
	v_mad_u32 v27, v18, 24, v27
	global_load_b64 v[18:19], v[26:27], off scope:SCOPE_SYS
	s_wait_xcnt 0x0
	s_wait_loadcnt 0x0
	global_atomic_cmpswap_b64 v[26:27], v53, v[18:21], s[2:3] offset:24 th:TH_ATOMIC_RETURN scope:SCOPE_SYS
	s_wait_loadcnt 0x0
	global_inv scope:SCOPE_SYS
	v_cmp_eq_u64_e32 vcc_lo, v[26:27], v[20:21]
	s_or_b32 s11, vcc_lo, s11
	s_wait_xcnt 0x0
	s_and_not1_b32 exec_lo, exec_lo, s11
	s_cbranch_execnz .LBB3_1371
; %bb.1372:                             ;   in Loop: Header=BB3_1319 Depth=2
	s_or_b32 exec_lo, exec_lo, s11
.LBB3_1373:                             ;   in Loop: Header=BB3_1319 Depth=2
	s_delay_alu instid0(SALU_CYCLE_1)
	s_or_b32 exec_lo, exec_lo, s10
.LBB3_1374:                             ;   in Loop: Header=BB3_1319 Depth=2
	s_delay_alu instid0(SALU_CYCLE_1)
	s_or_b32 exec_lo, exec_lo, s1
	s_clause 0x1
	global_load_b64 v[28:29], v53, s[2:3] offset:40
	global_load_b128 v[18:21], v53, s[2:3]
	v_readfirstlane_b32 s10, v26
	v_readfirstlane_b32 s11, v27
	s_mov_b32 s1, exec_lo
	s_wait_loadcnt 0x1
	v_and_b32_e32 v28, s10, v28
	v_and_b32_e32 v29, s11, v29
	s_delay_alu instid0(VALU_DEP_1) | instskip(SKIP_1) | instid1(VALU_DEP_1)
	v_mul_u64_e32 v[26:27], 24, v[28:29]
	s_wait_loadcnt 0x0
	v_add_nc_u64_e32 v[26:27], v[18:19], v[26:27]
	s_wait_xcnt 0x0
	s_and_saveexec_b32 s12, s0
	s_cbranch_execz .LBB3_1376
; %bb.1375:                             ;   in Loop: Header=BB3_1319 Depth=2
	v_mov_b32_e32 v52, s1
	global_store_b128 v[26:27], v[52:55], off offset:8
.LBB3_1376:                             ;   in Loop: Header=BB3_1319 Depth=2
	s_wait_xcnt 0x0
	s_or_b32 exec_lo, exec_lo, s12
	v_cmp_lt_u64_e64 vcc_lo, s[4:5], 57
	v_lshlrev_b64_e32 v[28:29], 12, v[28:29]
	v_and_b32_e32 v2, 0xffffff1f, v2
	s_lshl_b32 s1, s8, 2
	s_delay_alu instid0(SALU_CYCLE_1) | instskip(SKIP_1) | instid1(VALU_DEP_3)
	s_add_co_i32 s1, s1, 28
	v_cndmask_b32_e32 v23, 0, v24, vcc_lo
	v_add_nc_u64_e32 v[20:21], v[20:21], v[28:29]
	s_delay_alu instid0(VALU_DEP_2) | instskip(NEXT) | instid1(VALU_DEP_2)
	v_or_b32_e32 v2, v2, v23
	v_readfirstlane_b32 s12, v20
	s_delay_alu instid0(VALU_DEP_3) | instskip(NEXT) | instid1(VALU_DEP_3)
	v_readfirstlane_b32 s13, v21
	v_and_or_b32 v2, 0x1e0, s1, v2
	s_clause 0x3
	global_store_b128 v22, v[2:5], s[12:13]
	global_store_b128 v22, v[6:9], s[12:13] offset:16
	global_store_b128 v22, v[10:13], s[12:13] offset:32
	;; [unrolled: 1-line block ×3, first 2 shown]
	s_wait_xcnt 0x0
	s_and_saveexec_b32 s1, s0
	s_cbranch_execz .LBB3_1384
; %bb.1377:                             ;   in Loop: Header=BB3_1319 Depth=2
	s_clause 0x1
	global_load_b64 v[10:11], v53, s[2:3] offset:32 scope:SCOPE_SYS
	global_load_b64 v[2:3], v53, s[2:3] offset:40
	s_mov_b32 s12, exec_lo
	v_dual_mov_b32 v8, s10 :: v_dual_mov_b32 v9, s11
	s_wait_loadcnt 0x0
	v_and_b32_e32 v3, s11, v3
	v_and_b32_e32 v2, s10, v2
	s_delay_alu instid0(VALU_DEP_1) | instskip(NEXT) | instid1(VALU_DEP_1)
	v_mul_u64_e32 v[2:3], 24, v[2:3]
	v_add_nc_u64_e32 v[6:7], v[18:19], v[2:3]
	global_store_b64 v[6:7], v[10:11], off
	global_wb scope:SCOPE_SYS
	s_wait_storecnt 0x0
	s_wait_xcnt 0x0
	global_atomic_cmpswap_b64 v[4:5], v53, v[8:11], s[2:3] offset:32 th:TH_ATOMIC_RETURN scope:SCOPE_SYS
	s_wait_loadcnt 0x0
	v_cmpx_ne_u64_e64 v[4:5], v[10:11]
	s_cbranch_execz .LBB3_1380
; %bb.1378:                             ;   in Loop: Header=BB3_1319 Depth=2
	s_mov_b32 s13, 0
.LBB3_1379:                             ;   Parent Loop BB3_3 Depth=1
                                        ;     Parent Loop BB3_1319 Depth=2
                                        ; =>    This Inner Loop Header: Depth=3
	v_dual_mov_b32 v2, s10 :: v_dual_mov_b32 v3, s11
	s_sleep 1
	global_store_b64 v[6:7], v[4:5], off
	global_wb scope:SCOPE_SYS
	s_wait_storecnt 0x0
	s_wait_xcnt 0x0
	global_atomic_cmpswap_b64 v[2:3], v53, v[2:5], s[2:3] offset:32 th:TH_ATOMIC_RETURN scope:SCOPE_SYS
	s_wait_loadcnt 0x0
	v_cmp_eq_u64_e32 vcc_lo, v[2:3], v[4:5]
	v_mov_b64_e32 v[4:5], v[2:3]
	s_or_b32 s13, vcc_lo, s13
	s_delay_alu instid0(SALU_CYCLE_1)
	s_and_not1_b32 exec_lo, exec_lo, s13
	s_cbranch_execnz .LBB3_1379
.LBB3_1380:                             ;   in Loop: Header=BB3_1319 Depth=2
	s_or_b32 exec_lo, exec_lo, s12
	global_load_b64 v[2:3], v53, s[2:3] offset:16
	s_mov_b32 s13, exec_lo
	s_mov_b32 s12, exec_lo
	v_mbcnt_lo_u32_b32 v4, s13, 0
	s_wait_xcnt 0x0
	s_delay_alu instid0(VALU_DEP_1)
	v_cmpx_eq_u32_e32 0, v4
	s_cbranch_execz .LBB3_1382
; %bb.1381:                             ;   in Loop: Header=BB3_1319 Depth=2
	s_bcnt1_i32_b32 s13, s13
	s_delay_alu instid0(SALU_CYCLE_1)
	v_mov_b32_e32 v52, s13
	global_wb scope:SCOPE_SYS
	s_wait_loadcnt 0x0
	s_wait_storecnt 0x0
	global_atomic_add_u64 v[2:3], v[52:53], off offset:8 scope:SCOPE_SYS
.LBB3_1382:                             ;   in Loop: Header=BB3_1319 Depth=2
	s_wait_xcnt 0x0
	s_or_b32 exec_lo, exec_lo, s12
	s_wait_loadcnt 0x0
	global_load_b64 v[4:5], v[2:3], off offset:16
	s_wait_loadcnt 0x0
	v_cmp_eq_u64_e32 vcc_lo, 0, v[4:5]
	s_cbranch_vccnz .LBB3_1384
; %bb.1383:                             ;   in Loop: Header=BB3_1319 Depth=2
	global_load_b32 v52, v[2:3], off offset:24
	s_wait_loadcnt 0x0
	v_readfirstlane_b32 s12, v52
	global_wb scope:SCOPE_SYS
	s_wait_storecnt 0x0
	s_wait_xcnt 0x0
	global_store_b64 v[4:5], v[52:53], off scope:SCOPE_SYS
	s_and_b32 m0, s12, 0xffffff
	s_sendmsg sendmsg(MSG_INTERRUPT)
.LBB3_1384:                             ;   in Loop: Header=BB3_1319 Depth=2
	s_wait_xcnt 0x0
	s_or_b32 exec_lo, exec_lo, s1
	v_mov_b32_e32 v23, v53
	s_delay_alu instid0(VALU_DEP_1)
	v_add_nc_u64_e32 v[2:3], v[20:21], v[22:23]
	s_branch .LBB3_1388
.LBB3_1385:                             ;   in Loop: Header=BB3_1388 Depth=3
	s_wait_xcnt 0x0
	s_or_b32 exec_lo, exec_lo, s1
	s_delay_alu instid0(VALU_DEP_1)
	v_readfirstlane_b32 s1, v4
	s_cmp_eq_u32 s1, 0
	s_cbranch_scc1 .LBB3_1387
; %bb.1386:                             ;   in Loop: Header=BB3_1388 Depth=3
	s_sleep 1
	s_cbranch_execnz .LBB3_1388
	s_branch .LBB3_1390
.LBB3_1387:                             ;   in Loop: Header=BB3_1319 Depth=2
	s_branch .LBB3_1390
.LBB3_1388:                             ;   Parent Loop BB3_3 Depth=1
                                        ;     Parent Loop BB3_1319 Depth=2
                                        ; =>    This Inner Loop Header: Depth=3
	v_mov_b32_e32 v4, 1
	s_and_saveexec_b32 s1, s0
	s_cbranch_execz .LBB3_1385
; %bb.1389:                             ;   in Loop: Header=BB3_1388 Depth=3
	global_load_b32 v4, v[26:27], off offset:20 scope:SCOPE_SYS
	s_wait_loadcnt 0x0
	global_inv scope:SCOPE_SYS
	v_and_b32_e32 v4, 1, v4
	s_branch .LBB3_1385
.LBB3_1390:                             ;   in Loop: Header=BB3_1319 Depth=2
	global_load_b64 v[2:3], v[2:3], off
	s_wait_xcnt 0x0
	s_and_saveexec_b32 s12, s0
	s_cbranch_execz .LBB3_1318
; %bb.1391:                             ;   in Loop: Header=BB3_1319 Depth=2
	s_clause 0x2
	global_load_b64 v[4:5], v53, s[2:3] offset:40
	global_load_b64 v[12:13], v53, s[2:3] offset:24 scope:SCOPE_SYS
	global_load_b64 v[6:7], v53, s[2:3]
	s_wait_loadcnt 0x2
	v_readfirstlane_b32 s18, v4
	v_readfirstlane_b32 s19, v5
	s_add_nc_u64 s[0:1], s[18:19], 1
	s_delay_alu instid0(SALU_CYCLE_1) | instskip(NEXT) | instid1(SALU_CYCLE_1)
	s_add_nc_u64 s[10:11], s[0:1], s[10:11]
	s_cmp_eq_u64 s[10:11], 0
	s_cselect_b32 s1, s1, s11
	s_cselect_b32 s0, s0, s10
	s_delay_alu instid0(SALU_CYCLE_1) | instskip(SKIP_1) | instid1(SALU_CYCLE_1)
	v_dual_mov_b32 v11, s1 :: v_dual_mov_b32 v10, s0
	s_and_b64 s[10:11], s[0:1], s[18:19]
	s_mul_u64 s[10:11], s[10:11], 24
	s_wait_loadcnt 0x0
	v_add_nc_u64_e32 v[8:9], s[10:11], v[6:7]
	global_store_b64 v[8:9], v[12:13], off
	global_wb scope:SCOPE_SYS
	s_wait_storecnt 0x0
	s_wait_xcnt 0x0
	global_atomic_cmpswap_b64 v[6:7], v53, v[10:13], s[2:3] offset:24 th:TH_ATOMIC_RETURN scope:SCOPE_SYS
	s_wait_loadcnt 0x0
	v_cmp_ne_u64_e32 vcc_lo, v[6:7], v[12:13]
	s_and_b32 exec_lo, exec_lo, vcc_lo
	s_cbranch_execz .LBB3_1318
; %bb.1392:                             ;   in Loop: Header=BB3_1319 Depth=2
	s_mov_b32 s10, 0
.LBB3_1393:                             ;   Parent Loop BB3_3 Depth=1
                                        ;     Parent Loop BB3_1319 Depth=2
                                        ; =>    This Inner Loop Header: Depth=3
	v_dual_mov_b32 v4, s0 :: v_dual_mov_b32 v5, s1
	s_sleep 1
	global_store_b64 v[8:9], v[6:7], off
	global_wb scope:SCOPE_SYS
	s_wait_storecnt 0x0
	s_wait_xcnt 0x0
	global_atomic_cmpswap_b64 v[4:5], v53, v[4:7], s[2:3] offset:24 th:TH_ATOMIC_RETURN scope:SCOPE_SYS
	s_wait_loadcnt 0x0
	v_cmp_eq_u64_e32 vcc_lo, v[4:5], v[6:7]
	v_mov_b64_e32 v[6:7], v[4:5]
	s_or_b32 s10, vcc_lo, s10
	s_delay_alu instid0(SALU_CYCLE_1)
	s_and_not1_b32 exec_lo, exec_lo, s10
	s_cbranch_execnz .LBB3_1393
	s_branch .LBB3_1318
.LBB3_1394:                             ;   in Loop: Header=BB3_3 Depth=1
	s_branch .LBB3_1423
.LBB3_1395:                             ;   in Loop: Header=BB3_3 Depth=1
                                        ; implicit-def: $vgpr2_vgpr3
	s_cbranch_execz .LBB3_1423
; %bb.1396:                             ;   in Loop: Header=BB3_3 Depth=1
	v_readfirstlane_b32 s0, v80
	s_wait_loadcnt 0x0
	v_mov_b64_e32 v[2:3], 0
	s_delay_alu instid0(VALU_DEP_2)
	v_cmp_eq_u32_e64 s0, s0, v80
	s_and_saveexec_b32 s1, s0
	s_cbranch_execz .LBB3_1402
; %bb.1397:                             ;   in Loop: Header=BB3_3 Depth=1
	global_load_b64 v[4:5], v53, s[2:3] offset:24 scope:SCOPE_SYS
	s_wait_loadcnt 0x0
	global_inv scope:SCOPE_SYS
	s_clause 0x1
	global_load_b64 v[2:3], v53, s[2:3] offset:40
	global_load_b64 v[6:7], v53, s[2:3]
	s_mov_b32 s4, exec_lo
	s_wait_loadcnt 0x1
	v_and_b32_e32 v2, v2, v4
	v_and_b32_e32 v3, v3, v5
	s_delay_alu instid0(VALU_DEP_1) | instskip(SKIP_1) | instid1(VALU_DEP_1)
	v_mul_u64_e32 v[2:3], 24, v[2:3]
	s_wait_loadcnt 0x0
	v_add_nc_u64_e32 v[2:3], v[6:7], v[2:3]
	global_load_b64 v[2:3], v[2:3], off scope:SCOPE_SYS
	s_wait_xcnt 0x0
	s_wait_loadcnt 0x0
	global_atomic_cmpswap_b64 v[2:3], v53, v[2:5], s[2:3] offset:24 th:TH_ATOMIC_RETURN scope:SCOPE_SYS
	s_wait_loadcnt 0x0
	global_inv scope:SCOPE_SYS
	s_wait_xcnt 0x0
	v_cmpx_ne_u64_e64 v[2:3], v[4:5]
	s_cbranch_execz .LBB3_1401
; %bb.1398:                             ;   in Loop: Header=BB3_3 Depth=1
	s_mov_b32 s5, 0
.LBB3_1399:                             ;   Parent Loop BB3_3 Depth=1
                                        ; =>  This Inner Loop Header: Depth=2
	s_sleep 1
	s_clause 0x1
	global_load_b64 v[6:7], v53, s[2:3] offset:40
	global_load_b64 v[8:9], v53, s[2:3]
	v_mov_b64_e32 v[4:5], v[2:3]
	s_wait_loadcnt 0x1
	s_delay_alu instid0(VALU_DEP_1) | instskip(NEXT) | instid1(VALU_DEP_2)
	v_and_b32_e32 v2, v6, v4
	v_and_b32_e32 v6, v7, v5
	s_wait_loadcnt 0x0
	s_delay_alu instid0(VALU_DEP_2) | instskip(NEXT) | instid1(VALU_DEP_1)
	v_mad_nc_u64_u32 v[2:3], v2, 24, v[8:9]
	v_mad_u32 v3, v6, 24, v3
	global_load_b64 v[2:3], v[2:3], off scope:SCOPE_SYS
	s_wait_xcnt 0x0
	s_wait_loadcnt 0x0
	global_atomic_cmpswap_b64 v[2:3], v53, v[2:5], s[2:3] offset:24 th:TH_ATOMIC_RETURN scope:SCOPE_SYS
	s_wait_loadcnt 0x0
	global_inv scope:SCOPE_SYS
	v_cmp_eq_u64_e32 vcc_lo, v[2:3], v[4:5]
	s_or_b32 s5, vcc_lo, s5
	s_wait_xcnt 0x0
	s_and_not1_b32 exec_lo, exec_lo, s5
	s_cbranch_execnz .LBB3_1399
; %bb.1400:                             ;   in Loop: Header=BB3_3 Depth=1
	s_or_b32 exec_lo, exec_lo, s5
.LBB3_1401:                             ;   in Loop: Header=BB3_3 Depth=1
	s_delay_alu instid0(SALU_CYCLE_1)
	s_or_b32 exec_lo, exec_lo, s4
.LBB3_1402:                             ;   in Loop: Header=BB3_3 Depth=1
	s_delay_alu instid0(SALU_CYCLE_1)
	s_or_b32 exec_lo, exec_lo, s1
	s_clause 0x1
	global_load_b64 v[8:9], v53, s[2:3] offset:40
	global_load_b128 v[4:7], v53, s[2:3]
	v_readfirstlane_b32 s4, v2
	v_readfirstlane_b32 s5, v3
	s_mov_b32 s1, exec_lo
	s_wait_loadcnt 0x1
	v_and_b32_e32 v2, s4, v8
	v_and_b32_e32 v3, s5, v9
	s_delay_alu instid0(VALU_DEP_1) | instskip(SKIP_1) | instid1(VALU_DEP_1)
	v_mul_u64_e32 v[8:9], 24, v[2:3]
	s_wait_loadcnt 0x0
	v_add_nc_u64_e32 v[8:9], v[4:5], v[8:9]
	s_wait_xcnt 0x0
	s_and_saveexec_b32 s6, s0
	s_cbranch_execz .LBB3_1404
; %bb.1403:                             ;   in Loop: Header=BB3_3 Depth=1
	v_mov_b32_e32 v52, s1
	global_store_b128 v[8:9], v[52:55], off offset:8
.LBB3_1404:                             ;   in Loop: Header=BB3_3 Depth=1
	s_wait_xcnt 0x0
	s_or_b32 exec_lo, exec_lo, s6
	v_lshlrev_b64_e32 v[2:3], 12, v[2:3]
	s_mov_b32 s17, s16
	s_mov_b32 s18, s16
	;; [unrolled: 1-line block ×3, first 2 shown]
	v_mov_b64_e32 v[10:11], s[16:17]
	v_mov_b64_e32 v[12:13], s[18:19]
	v_and_or_b32 v0, 0xffffff1f, v0, 32
	v_add_nc_u64_e32 v[6:7], v[6:7], v[2:3]
	v_dual_mov_b32 v2, v53 :: v_dual_mov_b32 v3, v53
	s_delay_alu instid0(VALU_DEP_2) | instskip(NEXT) | instid1(VALU_DEP_3)
	v_readfirstlane_b32 s6, v6
	v_readfirstlane_b32 s7, v7
	s_clause 0x3
	global_store_b128 v22, v[0:3], s[6:7]
	global_store_b128 v22, v[10:13], s[6:7] offset:16
	global_store_b128 v22, v[10:13], s[6:7] offset:32
	;; [unrolled: 1-line block ×3, first 2 shown]
	s_wait_xcnt 0x0
	s_and_saveexec_b32 s1, s0
	s_cbranch_execz .LBB3_1412
; %bb.1405:                             ;   in Loop: Header=BB3_3 Depth=1
	s_clause 0x1
	global_load_b64 v[12:13], v53, s[2:3] offset:32 scope:SCOPE_SYS
	global_load_b64 v[0:1], v53, s[2:3] offset:40
	s_mov_b32 s6, exec_lo
	v_dual_mov_b32 v10, s4 :: v_dual_mov_b32 v11, s5
	s_wait_loadcnt 0x0
	v_and_b32_e32 v1, s5, v1
	v_and_b32_e32 v0, s4, v0
	s_delay_alu instid0(VALU_DEP_1) | instskip(NEXT) | instid1(VALU_DEP_1)
	v_mul_u64_e32 v[0:1], 24, v[0:1]
	v_add_nc_u64_e32 v[4:5], v[4:5], v[0:1]
	global_store_b64 v[4:5], v[12:13], off
	global_wb scope:SCOPE_SYS
	s_wait_storecnt 0x0
	s_wait_xcnt 0x0
	global_atomic_cmpswap_b64 v[2:3], v53, v[10:13], s[2:3] offset:32 th:TH_ATOMIC_RETURN scope:SCOPE_SYS
	s_wait_loadcnt 0x0
	v_cmpx_ne_u64_e64 v[2:3], v[12:13]
	s_cbranch_execz .LBB3_1408
; %bb.1406:                             ;   in Loop: Header=BB3_3 Depth=1
	s_mov_b32 s7, 0
.LBB3_1407:                             ;   Parent Loop BB3_3 Depth=1
                                        ; =>  This Inner Loop Header: Depth=2
	v_dual_mov_b32 v0, s4 :: v_dual_mov_b32 v1, s5
	s_sleep 1
	global_store_b64 v[4:5], v[2:3], off
	global_wb scope:SCOPE_SYS
	s_wait_storecnt 0x0
	s_wait_xcnt 0x0
	global_atomic_cmpswap_b64 v[0:1], v53, v[0:3], s[2:3] offset:32 th:TH_ATOMIC_RETURN scope:SCOPE_SYS
	s_wait_loadcnt 0x0
	v_cmp_eq_u64_e32 vcc_lo, v[0:1], v[2:3]
	v_mov_b64_e32 v[2:3], v[0:1]
	s_or_b32 s7, vcc_lo, s7
	s_delay_alu instid0(SALU_CYCLE_1)
	s_and_not1_b32 exec_lo, exec_lo, s7
	s_cbranch_execnz .LBB3_1407
.LBB3_1408:                             ;   in Loop: Header=BB3_3 Depth=1
	s_or_b32 exec_lo, exec_lo, s6
	global_load_b64 v[0:1], v53, s[2:3] offset:16
	s_mov_b32 s7, exec_lo
	s_mov_b32 s6, exec_lo
	v_mbcnt_lo_u32_b32 v2, s7, 0
	s_wait_xcnt 0x0
	s_delay_alu instid0(VALU_DEP_1)
	v_cmpx_eq_u32_e32 0, v2
	s_cbranch_execz .LBB3_1410
; %bb.1409:                             ;   in Loop: Header=BB3_3 Depth=1
	s_bcnt1_i32_b32 s7, s7
	s_delay_alu instid0(SALU_CYCLE_1)
	v_mov_b32_e32 v52, s7
	global_wb scope:SCOPE_SYS
	s_wait_loadcnt 0x0
	s_wait_storecnt 0x0
	global_atomic_add_u64 v[0:1], v[52:53], off offset:8 scope:SCOPE_SYS
.LBB3_1410:                             ;   in Loop: Header=BB3_3 Depth=1
	s_wait_xcnt 0x0
	s_or_b32 exec_lo, exec_lo, s6
	s_wait_loadcnt 0x0
	global_load_b64 v[2:3], v[0:1], off offset:16
	s_wait_loadcnt 0x0
	v_cmp_eq_u64_e32 vcc_lo, 0, v[2:3]
	s_cbranch_vccnz .LBB3_1412
; %bb.1411:                             ;   in Loop: Header=BB3_3 Depth=1
	global_load_b32 v52, v[0:1], off offset:24
	s_wait_loadcnt 0x0
	v_readfirstlane_b32 s6, v52
	global_wb scope:SCOPE_SYS
	s_wait_storecnt 0x0
	s_wait_xcnt 0x0
	global_store_b64 v[2:3], v[52:53], off scope:SCOPE_SYS
	s_and_b32 m0, s6, 0xffffff
	s_sendmsg sendmsg(MSG_INTERRUPT)
.LBB3_1412:                             ;   in Loop: Header=BB3_3 Depth=1
	s_wait_xcnt 0x0
	s_or_b32 exec_lo, exec_lo, s1
	v_mov_b32_e32 v23, v53
	s_delay_alu instid0(VALU_DEP_1)
	v_add_nc_u64_e32 v[0:1], v[6:7], v[22:23]
	s_branch .LBB3_1416
.LBB3_1413:                             ;   in Loop: Header=BB3_1416 Depth=2
	s_wait_xcnt 0x0
	s_or_b32 exec_lo, exec_lo, s1
	s_delay_alu instid0(VALU_DEP_1)
	v_readfirstlane_b32 s1, v2
	s_cmp_eq_u32 s1, 0
	s_cbranch_scc1 .LBB3_1415
; %bb.1414:                             ;   in Loop: Header=BB3_1416 Depth=2
	s_sleep 1
	s_cbranch_execnz .LBB3_1416
	s_branch .LBB3_1418
.LBB3_1415:                             ;   in Loop: Header=BB3_3 Depth=1
	s_branch .LBB3_1418
.LBB3_1416:                             ;   Parent Loop BB3_3 Depth=1
                                        ; =>  This Inner Loop Header: Depth=2
	v_mov_b32_e32 v2, 1
	s_and_saveexec_b32 s1, s0
	s_cbranch_execz .LBB3_1413
; %bb.1417:                             ;   in Loop: Header=BB3_1416 Depth=2
	global_load_b32 v2, v[8:9], off offset:20 scope:SCOPE_SYS
	s_wait_loadcnt 0x0
	global_inv scope:SCOPE_SYS
	v_and_b32_e32 v2, 1, v2
	s_branch .LBB3_1413
.LBB3_1418:                             ;   in Loop: Header=BB3_3 Depth=1
	global_load_b64 v[2:3], v[0:1], off
	s_wait_xcnt 0x0
	s_and_saveexec_b32 s6, s0
	s_cbranch_execz .LBB3_1422
; %bb.1419:                             ;   in Loop: Header=BB3_3 Depth=1
	s_clause 0x2
	global_load_b64 v[0:1], v53, s[2:3] offset:40
	global_load_b64 v[8:9], v53, s[2:3] offset:24 scope:SCOPE_SYS
	global_load_b64 v[4:5], v53, s[2:3]
	s_wait_loadcnt 0x2
	v_readfirstlane_b32 s8, v0
	v_readfirstlane_b32 s9, v1
	s_add_nc_u64 s[0:1], s[8:9], 1
	s_delay_alu instid0(SALU_CYCLE_1) | instskip(NEXT) | instid1(SALU_CYCLE_1)
	s_add_nc_u64 s[4:5], s[0:1], s[4:5]
	s_cmp_eq_u64 s[4:5], 0
	s_cselect_b32 s1, s1, s5
	s_cselect_b32 s0, s0, s4
	s_delay_alu instid0(SALU_CYCLE_1) | instskip(SKIP_1) | instid1(SALU_CYCLE_1)
	v_dual_mov_b32 v7, s1 :: v_dual_mov_b32 v6, s0
	s_and_b64 s[4:5], s[0:1], s[8:9]
	s_mul_u64 s[4:5], s[4:5], 24
	s_wait_loadcnt 0x0
	v_add_nc_u64_e32 v[0:1], s[4:5], v[4:5]
	global_store_b64 v[0:1], v[8:9], off
	global_wb scope:SCOPE_SYS
	s_wait_storecnt 0x0
	s_wait_xcnt 0x0
	global_atomic_cmpswap_b64 v[6:7], v53, v[6:9], s[2:3] offset:24 th:TH_ATOMIC_RETURN scope:SCOPE_SYS
	s_wait_loadcnt 0x0
	v_cmp_ne_u64_e32 vcc_lo, v[6:7], v[8:9]
	s_and_b32 exec_lo, exec_lo, vcc_lo
	s_cbranch_execz .LBB3_1422
; %bb.1420:                             ;   in Loop: Header=BB3_3 Depth=1
	s_mov_b32 s4, 0
.LBB3_1421:                             ;   Parent Loop BB3_3 Depth=1
                                        ; =>  This Inner Loop Header: Depth=2
	v_dual_mov_b32 v4, s0 :: v_dual_mov_b32 v5, s1
	s_sleep 1
	global_store_b64 v[0:1], v[6:7], off
	global_wb scope:SCOPE_SYS
	s_wait_storecnt 0x0
	s_wait_xcnt 0x0
	global_atomic_cmpswap_b64 v[4:5], v53, v[4:7], s[2:3] offset:24 th:TH_ATOMIC_RETURN scope:SCOPE_SYS
	s_wait_loadcnt 0x0
	v_cmp_eq_u64_e32 vcc_lo, v[4:5], v[6:7]
	v_mov_b64_e32 v[6:7], v[4:5]
	s_or_b32 s4, vcc_lo, s4
	s_delay_alu instid0(SALU_CYCLE_1)
	s_and_not1_b32 exec_lo, exec_lo, s4
	s_cbranch_execnz .LBB3_1421
.LBB3_1422:                             ;   in Loop: Header=BB3_3 Depth=1
	s_or_b32 exec_lo, exec_lo, s6
.LBB3_1423:                             ;   in Loop: Header=BB3_3 Depth=1
	v_readfirstlane_b32 s0, v80
	s_wait_loadcnt 0x0
	v_mov_b64_e32 v[0:1], 0
	s_delay_alu instid0(VALU_DEP_2)
	v_cmp_eq_u32_e64 s0, s0, v80
	s_and_saveexec_b32 s1, s0
	s_cbranch_execz .LBB3_1429
; %bb.1424:                             ;   in Loop: Header=BB3_3 Depth=1
	global_load_b64 v[6:7], v53, s[2:3] offset:24 scope:SCOPE_SYS
	s_wait_loadcnt 0x0
	global_inv scope:SCOPE_SYS
	s_clause 0x1
	global_load_b64 v[0:1], v53, s[2:3] offset:40
	global_load_b64 v[4:5], v53, s[2:3]
	s_mov_b32 s4, exec_lo
	s_wait_loadcnt 0x1
	v_and_b32_e32 v0, v0, v6
	v_and_b32_e32 v1, v1, v7
	s_delay_alu instid0(VALU_DEP_1) | instskip(SKIP_1) | instid1(VALU_DEP_1)
	v_mul_u64_e32 v[0:1], 24, v[0:1]
	s_wait_loadcnt 0x0
	v_add_nc_u64_e32 v[0:1], v[4:5], v[0:1]
	global_load_b64 v[4:5], v[0:1], off scope:SCOPE_SYS
	s_wait_xcnt 0x0
	s_wait_loadcnt 0x0
	global_atomic_cmpswap_b64 v[0:1], v53, v[4:7], s[2:3] offset:24 th:TH_ATOMIC_RETURN scope:SCOPE_SYS
	s_wait_loadcnt 0x0
	global_inv scope:SCOPE_SYS
	s_wait_xcnt 0x0
	v_cmpx_ne_u64_e64 v[0:1], v[6:7]
	s_cbranch_execz .LBB3_1428
; %bb.1425:                             ;   in Loop: Header=BB3_3 Depth=1
	s_mov_b32 s5, 0
.LBB3_1426:                             ;   Parent Loop BB3_3 Depth=1
                                        ; =>  This Inner Loop Header: Depth=2
	s_sleep 1
	s_clause 0x1
	global_load_b64 v[4:5], v53, s[2:3] offset:40
	global_load_b64 v[8:9], v53, s[2:3]
	v_mov_b64_e32 v[6:7], v[0:1]
	s_wait_loadcnt 0x1
	s_delay_alu instid0(VALU_DEP_1) | instskip(NEXT) | instid1(VALU_DEP_2)
	v_and_b32_e32 v0, v4, v6
	v_and_b32_e32 v4, v5, v7
	s_wait_loadcnt 0x0
	s_delay_alu instid0(VALU_DEP_2) | instskip(NEXT) | instid1(VALU_DEP_1)
	v_mad_nc_u64_u32 v[0:1], v0, 24, v[8:9]
	v_mad_u32 v1, v4, 24, v1
	global_load_b64 v[4:5], v[0:1], off scope:SCOPE_SYS
	s_wait_xcnt 0x0
	s_wait_loadcnt 0x0
	global_atomic_cmpswap_b64 v[0:1], v53, v[4:7], s[2:3] offset:24 th:TH_ATOMIC_RETURN scope:SCOPE_SYS
	s_wait_loadcnt 0x0
	global_inv scope:SCOPE_SYS
	v_cmp_eq_u64_e32 vcc_lo, v[0:1], v[6:7]
	s_or_b32 s5, vcc_lo, s5
	s_wait_xcnt 0x0
	s_and_not1_b32 exec_lo, exec_lo, s5
	s_cbranch_execnz .LBB3_1426
; %bb.1427:                             ;   in Loop: Header=BB3_3 Depth=1
	s_or_b32 exec_lo, exec_lo, s5
.LBB3_1428:                             ;   in Loop: Header=BB3_3 Depth=1
	s_delay_alu instid0(SALU_CYCLE_1)
	s_or_b32 exec_lo, exec_lo, s4
.LBB3_1429:                             ;   in Loop: Header=BB3_3 Depth=1
	s_delay_alu instid0(SALU_CYCLE_1)
	s_or_b32 exec_lo, exec_lo, s1
	s_clause 0x1
	global_load_b64 v[4:5], v53, s[2:3] offset:40
	global_load_b128 v[6:9], v53, s[2:3]
	v_readfirstlane_b32 s4, v0
	v_readfirstlane_b32 s5, v1
	s_mov_b32 s1, exec_lo
	s_wait_loadcnt 0x1
	v_and_b32_e32 v0, s4, v4
	v_and_b32_e32 v1, s5, v5
	s_delay_alu instid0(VALU_DEP_1) | instskip(SKIP_1) | instid1(VALU_DEP_1)
	v_mul_u64_e32 v[4:5], 24, v[0:1]
	s_wait_loadcnt 0x0
	v_add_nc_u64_e32 v[10:11], v[6:7], v[4:5]
	s_wait_xcnt 0x0
	s_and_saveexec_b32 s6, s0
	s_cbranch_execz .LBB3_1431
; %bb.1430:                             ;   in Loop: Header=BB3_3 Depth=1
	v_mov_b32_e32 v52, s1
	global_store_b128 v[10:11], v[52:55], off offset:8
.LBB3_1431:                             ;   in Loop: Header=BB3_3 Depth=1
	s_wait_xcnt 0x0
	s_or_b32 exec_lo, exec_lo, s6
	v_lshlrev_b64_e32 v[0:1], 12, v[0:1]
	s_mov_b32 s17, s16
	s_mov_b32 s18, s16
	;; [unrolled: 1-line block ×3, first 2 shown]
	v_mov_b64_e32 v[12:13], s[16:17]
	v_mov_b64_e32 v[14:15], s[18:19]
	v_and_or_b32 v2, 0xffffff1f, v2, 32
	v_add_nc_u64_e32 v[8:9], v[8:9], v[0:1]
	v_dual_mov_b32 v4, v50 :: v_dual_mov_b32 v5, v51
	s_delay_alu instid0(VALU_DEP_2) | instskip(NEXT) | instid1(VALU_DEP_3)
	v_readfirstlane_b32 s6, v8
	v_readfirstlane_b32 s7, v9
	s_clause 0x3
	global_store_b128 v22, v[2:5], s[6:7]
	global_store_b128 v22, v[12:15], s[6:7] offset:16
	global_store_b128 v22, v[12:15], s[6:7] offset:32
	;; [unrolled: 1-line block ×3, first 2 shown]
	s_wait_xcnt 0x0
	s_and_saveexec_b32 s1, s0
	s_cbranch_execz .LBB3_1439
; %bb.1432:                             ;   in Loop: Header=BB3_3 Depth=1
	s_clause 0x1
	global_load_b64 v[14:15], v53, s[2:3] offset:32 scope:SCOPE_SYS
	global_load_b64 v[0:1], v53, s[2:3] offset:40
	s_mov_b32 s6, exec_lo
	v_dual_mov_b32 v12, s4 :: v_dual_mov_b32 v13, s5
	s_wait_loadcnt 0x0
	v_and_b32_e32 v1, s5, v1
	v_and_b32_e32 v0, s4, v0
	s_delay_alu instid0(VALU_DEP_1) | instskip(NEXT) | instid1(VALU_DEP_1)
	v_mul_u64_e32 v[0:1], 24, v[0:1]
	v_add_nc_u64_e32 v[4:5], v[6:7], v[0:1]
	global_store_b64 v[4:5], v[14:15], off
	global_wb scope:SCOPE_SYS
	s_wait_storecnt 0x0
	s_wait_xcnt 0x0
	global_atomic_cmpswap_b64 v[2:3], v53, v[12:15], s[2:3] offset:32 th:TH_ATOMIC_RETURN scope:SCOPE_SYS
	s_wait_loadcnt 0x0
	v_cmpx_ne_u64_e64 v[2:3], v[14:15]
	s_cbranch_execz .LBB3_1435
; %bb.1433:                             ;   in Loop: Header=BB3_3 Depth=1
	s_mov_b32 s7, 0
.LBB3_1434:                             ;   Parent Loop BB3_3 Depth=1
                                        ; =>  This Inner Loop Header: Depth=2
	v_dual_mov_b32 v0, s4 :: v_dual_mov_b32 v1, s5
	s_sleep 1
	global_store_b64 v[4:5], v[2:3], off
	global_wb scope:SCOPE_SYS
	s_wait_storecnt 0x0
	s_wait_xcnt 0x0
	global_atomic_cmpswap_b64 v[0:1], v53, v[0:3], s[2:3] offset:32 th:TH_ATOMIC_RETURN scope:SCOPE_SYS
	s_wait_loadcnt 0x0
	v_cmp_eq_u64_e32 vcc_lo, v[0:1], v[2:3]
	v_mov_b64_e32 v[2:3], v[0:1]
	s_or_b32 s7, vcc_lo, s7
	s_delay_alu instid0(SALU_CYCLE_1)
	s_and_not1_b32 exec_lo, exec_lo, s7
	s_cbranch_execnz .LBB3_1434
.LBB3_1435:                             ;   in Loop: Header=BB3_3 Depth=1
	s_or_b32 exec_lo, exec_lo, s6
	global_load_b64 v[0:1], v53, s[2:3] offset:16
	s_mov_b32 s7, exec_lo
	s_mov_b32 s6, exec_lo
	v_mbcnt_lo_u32_b32 v2, s7, 0
	s_wait_xcnt 0x0
	s_delay_alu instid0(VALU_DEP_1)
	v_cmpx_eq_u32_e32 0, v2
	s_cbranch_execz .LBB3_1437
; %bb.1436:                             ;   in Loop: Header=BB3_3 Depth=1
	s_bcnt1_i32_b32 s7, s7
	s_delay_alu instid0(SALU_CYCLE_1)
	v_mov_b32_e32 v52, s7
	global_wb scope:SCOPE_SYS
	s_wait_loadcnt 0x0
	s_wait_storecnt 0x0
	global_atomic_add_u64 v[0:1], v[52:53], off offset:8 scope:SCOPE_SYS
.LBB3_1437:                             ;   in Loop: Header=BB3_3 Depth=1
	s_wait_xcnt 0x0
	s_or_b32 exec_lo, exec_lo, s6
	s_wait_loadcnt 0x0
	global_load_b64 v[2:3], v[0:1], off offset:16
	s_wait_loadcnt 0x0
	v_cmp_eq_u64_e32 vcc_lo, 0, v[2:3]
	s_cbranch_vccnz .LBB3_1439
; %bb.1438:                             ;   in Loop: Header=BB3_3 Depth=1
	global_load_b32 v52, v[0:1], off offset:24
	s_wait_loadcnt 0x0
	v_readfirstlane_b32 s6, v52
	global_wb scope:SCOPE_SYS
	s_wait_storecnt 0x0
	s_wait_xcnt 0x0
	global_store_b64 v[2:3], v[52:53], off scope:SCOPE_SYS
	s_and_b32 m0, s6, 0xffffff
	s_sendmsg sendmsg(MSG_INTERRUPT)
.LBB3_1439:                             ;   in Loop: Header=BB3_3 Depth=1
	s_wait_xcnt 0x0
	s_or_b32 exec_lo, exec_lo, s1
	v_mov_b32_e32 v23, v53
	s_delay_alu instid0(VALU_DEP_1)
	v_add_nc_u64_e32 v[0:1], v[8:9], v[22:23]
	s_branch .LBB3_1443
.LBB3_1440:                             ;   in Loop: Header=BB3_1443 Depth=2
	s_wait_xcnt 0x0
	s_or_b32 exec_lo, exec_lo, s1
	s_delay_alu instid0(VALU_DEP_1)
	v_readfirstlane_b32 s1, v2
	s_cmp_eq_u32 s1, 0
	s_cbranch_scc1 .LBB3_1442
; %bb.1441:                             ;   in Loop: Header=BB3_1443 Depth=2
	s_sleep 1
	s_cbranch_execnz .LBB3_1443
	s_branch .LBB3_1445
.LBB3_1442:                             ;   in Loop: Header=BB3_3 Depth=1
	s_branch .LBB3_1445
.LBB3_1443:                             ;   Parent Loop BB3_3 Depth=1
                                        ; =>  This Inner Loop Header: Depth=2
	v_mov_b32_e32 v2, 1
	s_and_saveexec_b32 s1, s0
	s_cbranch_execz .LBB3_1440
; %bb.1444:                             ;   in Loop: Header=BB3_1443 Depth=2
	global_load_b32 v2, v[10:11], off offset:20 scope:SCOPE_SYS
	s_wait_loadcnt 0x0
	global_inv scope:SCOPE_SYS
	v_and_b32_e32 v2, 1, v2
	s_branch .LBB3_1440
.LBB3_1445:                             ;   in Loop: Header=BB3_3 Depth=1
	global_load_b64 v[2:3], v[0:1], off
	s_wait_xcnt 0x0
	s_and_saveexec_b32 s6, s0
	s_cbranch_execz .LBB3_1449
; %bb.1446:                             ;   in Loop: Header=BB3_3 Depth=1
	s_clause 0x2
	global_load_b64 v[0:1], v53, s[2:3] offset:40
	global_load_b64 v[8:9], v53, s[2:3] offset:24 scope:SCOPE_SYS
	global_load_b64 v[4:5], v53, s[2:3]
	s_wait_loadcnt 0x2
	v_readfirstlane_b32 s8, v0
	v_readfirstlane_b32 s9, v1
	s_add_nc_u64 s[0:1], s[8:9], 1
	s_delay_alu instid0(SALU_CYCLE_1) | instskip(NEXT) | instid1(SALU_CYCLE_1)
	s_add_nc_u64 s[4:5], s[0:1], s[4:5]
	s_cmp_eq_u64 s[4:5], 0
	s_cselect_b32 s1, s1, s5
	s_cselect_b32 s0, s0, s4
	s_delay_alu instid0(SALU_CYCLE_1) | instskip(SKIP_1) | instid1(SALU_CYCLE_1)
	v_dual_mov_b32 v7, s1 :: v_dual_mov_b32 v6, s0
	s_and_b64 s[4:5], s[0:1], s[8:9]
	s_mul_u64 s[4:5], s[4:5], 24
	s_wait_loadcnt 0x0
	v_add_nc_u64_e32 v[0:1], s[4:5], v[4:5]
	global_store_b64 v[0:1], v[8:9], off
	global_wb scope:SCOPE_SYS
	s_wait_storecnt 0x0
	s_wait_xcnt 0x0
	global_atomic_cmpswap_b64 v[6:7], v53, v[6:9], s[2:3] offset:24 th:TH_ATOMIC_RETURN scope:SCOPE_SYS
	s_wait_loadcnt 0x0
	v_cmp_ne_u64_e32 vcc_lo, v[6:7], v[8:9]
	s_and_b32 exec_lo, exec_lo, vcc_lo
	s_cbranch_execz .LBB3_1449
; %bb.1447:                             ;   in Loop: Header=BB3_3 Depth=1
	s_mov_b32 s4, 0
.LBB3_1448:                             ;   Parent Loop BB3_3 Depth=1
                                        ; =>  This Inner Loop Header: Depth=2
	v_dual_mov_b32 v4, s0 :: v_dual_mov_b32 v5, s1
	s_sleep 1
	global_store_b64 v[0:1], v[6:7], off
	global_wb scope:SCOPE_SYS
	s_wait_storecnt 0x0
	s_wait_xcnt 0x0
	global_atomic_cmpswap_b64 v[4:5], v53, v[4:7], s[2:3] offset:24 th:TH_ATOMIC_RETURN scope:SCOPE_SYS
	s_wait_loadcnt 0x0
	v_cmp_eq_u64_e32 vcc_lo, v[4:5], v[6:7]
	v_mov_b64_e32 v[6:7], v[4:5]
	s_or_b32 s4, vcc_lo, s4
	s_delay_alu instid0(SALU_CYCLE_1)
	s_and_not1_b32 exec_lo, exec_lo, s4
	s_cbranch_execnz .LBB3_1448
.LBB3_1449:                             ;   in Loop: Header=BB3_3 Depth=1
	s_or_b32 exec_lo, exec_lo, s6
	v_readfirstlane_b32 s0, v80
	v_mov_b64_e32 v[0:1], 0
	s_delay_alu instid0(VALU_DEP_2)
	v_cmp_eq_u32_e64 s0, s0, v80
	s_and_saveexec_b32 s1, s0
	s_cbranch_execz .LBB3_1455
; %bb.1450:                             ;   in Loop: Header=BB3_3 Depth=1
	global_load_b64 v[6:7], v53, s[2:3] offset:24 scope:SCOPE_SYS
	s_wait_loadcnt 0x0
	global_inv scope:SCOPE_SYS
	s_clause 0x1
	global_load_b64 v[0:1], v53, s[2:3] offset:40
	global_load_b64 v[4:5], v53, s[2:3]
	s_mov_b32 s4, exec_lo
	s_wait_loadcnt 0x1
	v_and_b32_e32 v0, v0, v6
	v_and_b32_e32 v1, v1, v7
	s_delay_alu instid0(VALU_DEP_1) | instskip(SKIP_1) | instid1(VALU_DEP_1)
	v_mul_u64_e32 v[0:1], 24, v[0:1]
	s_wait_loadcnt 0x0
	v_add_nc_u64_e32 v[0:1], v[4:5], v[0:1]
	global_load_b64 v[4:5], v[0:1], off scope:SCOPE_SYS
	s_wait_xcnt 0x0
	s_wait_loadcnt 0x0
	global_atomic_cmpswap_b64 v[0:1], v53, v[4:7], s[2:3] offset:24 th:TH_ATOMIC_RETURN scope:SCOPE_SYS
	s_wait_loadcnt 0x0
	global_inv scope:SCOPE_SYS
	s_wait_xcnt 0x0
	v_cmpx_ne_u64_e64 v[0:1], v[6:7]
	s_cbranch_execz .LBB3_1454
; %bb.1451:                             ;   in Loop: Header=BB3_3 Depth=1
	s_mov_b32 s5, 0
.LBB3_1452:                             ;   Parent Loop BB3_3 Depth=1
                                        ; =>  This Inner Loop Header: Depth=2
	s_sleep 1
	s_clause 0x1
	global_load_b64 v[4:5], v53, s[2:3] offset:40
	global_load_b64 v[8:9], v53, s[2:3]
	v_mov_b64_e32 v[6:7], v[0:1]
	s_wait_loadcnt 0x1
	s_delay_alu instid0(VALU_DEP_1) | instskip(NEXT) | instid1(VALU_DEP_2)
	v_and_b32_e32 v0, v4, v6
	v_and_b32_e32 v4, v5, v7
	s_wait_loadcnt 0x0
	s_delay_alu instid0(VALU_DEP_2) | instskip(NEXT) | instid1(VALU_DEP_1)
	v_mad_nc_u64_u32 v[0:1], v0, 24, v[8:9]
	v_mad_u32 v1, v4, 24, v1
	global_load_b64 v[4:5], v[0:1], off scope:SCOPE_SYS
	s_wait_xcnt 0x0
	s_wait_loadcnt 0x0
	global_atomic_cmpswap_b64 v[0:1], v53, v[4:7], s[2:3] offset:24 th:TH_ATOMIC_RETURN scope:SCOPE_SYS
	s_wait_loadcnt 0x0
	global_inv scope:SCOPE_SYS
	v_cmp_eq_u64_e32 vcc_lo, v[0:1], v[6:7]
	s_or_b32 s5, vcc_lo, s5
	s_wait_xcnt 0x0
	s_and_not1_b32 exec_lo, exec_lo, s5
	s_cbranch_execnz .LBB3_1452
; %bb.1453:                             ;   in Loop: Header=BB3_3 Depth=1
	s_or_b32 exec_lo, exec_lo, s5
.LBB3_1454:                             ;   in Loop: Header=BB3_3 Depth=1
	s_delay_alu instid0(SALU_CYCLE_1)
	s_or_b32 exec_lo, exec_lo, s4
.LBB3_1455:                             ;   in Loop: Header=BB3_3 Depth=1
	s_delay_alu instid0(SALU_CYCLE_1)
	s_or_b32 exec_lo, exec_lo, s1
	s_clause 0x1
	global_load_b64 v[4:5], v53, s[2:3] offset:40
	global_load_b128 v[6:9], v53, s[2:3]
	v_readfirstlane_b32 s4, v0
	v_readfirstlane_b32 s5, v1
	s_mov_b32 s1, exec_lo
	s_wait_loadcnt 0x1
	v_and_b32_e32 v0, s4, v4
	v_and_b32_e32 v1, s5, v5
	s_delay_alu instid0(VALU_DEP_1) | instskip(SKIP_1) | instid1(VALU_DEP_1)
	v_mul_u64_e32 v[4:5], 24, v[0:1]
	s_wait_loadcnt 0x0
	v_add_nc_u64_e32 v[10:11], v[6:7], v[4:5]
	s_wait_xcnt 0x0
	s_and_saveexec_b32 s6, s0
	s_cbranch_execz .LBB3_1457
; %bb.1456:                             ;   in Loop: Header=BB3_3 Depth=1
	v_mov_b32_e32 v52, s1
	global_store_b128 v[10:11], v[52:55], off offset:8
.LBB3_1457:                             ;   in Loop: Header=BB3_3 Depth=1
	s_wait_xcnt 0x0
	s_or_b32 exec_lo, exec_lo, s6
	v_lshlrev_b64_e32 v[4:5], 12, v[0:1]
	s_wait_dscnt 0x0
	v_add_nc_u32_e32 v0, v32, v30
	s_mov_b32 s17, s16
	s_mov_b32 s18, s16
	;; [unrolled: 1-line block ×3, first 2 shown]
	v_mov_b64_e32 v[12:13], s[16:17]
	v_mov_b64_e32 v[14:15], s[18:19]
	v_add_nc_u64_e32 v[8:9], v[8:9], v[4:5]
	v_and_or_b32 v2, 0xffffff1f, v2, 32
	v_dual_mov_b32 v5, v53 :: v_dual_mov_b32 v4, v0
	s_delay_alu instid0(VALU_DEP_3) | instskip(NEXT) | instid1(VALU_DEP_4)
	v_readfirstlane_b32 s6, v8
	v_readfirstlane_b32 s7, v9
	s_clause 0x3
	global_store_b128 v22, v[2:5], s[6:7]
	global_store_b128 v22, v[12:15], s[6:7] offset:16
	global_store_b128 v22, v[12:15], s[6:7] offset:32
	global_store_b128 v22, v[12:15], s[6:7] offset:48
	s_wait_xcnt 0x0
	s_and_saveexec_b32 s1, s0
	s_cbranch_execz .LBB3_1465
; %bb.1458:                             ;   in Loop: Header=BB3_3 Depth=1
	s_clause 0x1
	global_load_b64 v[14:15], v53, s[2:3] offset:32 scope:SCOPE_SYS
	global_load_b64 v[2:3], v53, s[2:3] offset:40
	s_mov_b32 s6, exec_lo
	v_dual_mov_b32 v12, s4 :: v_dual_mov_b32 v13, s5
	s_wait_loadcnt 0x0
	v_and_b32_e32 v3, s5, v3
	v_and_b32_e32 v2, s4, v2
	s_delay_alu instid0(VALU_DEP_1) | instskip(NEXT) | instid1(VALU_DEP_1)
	v_mul_u64_e32 v[2:3], 24, v[2:3]
	v_add_nc_u64_e32 v[6:7], v[6:7], v[2:3]
	global_store_b64 v[6:7], v[14:15], off
	global_wb scope:SCOPE_SYS
	s_wait_storecnt 0x0
	s_wait_xcnt 0x0
	global_atomic_cmpswap_b64 v[4:5], v53, v[12:15], s[2:3] offset:32 th:TH_ATOMIC_RETURN scope:SCOPE_SYS
	s_wait_loadcnt 0x0
	v_cmpx_ne_u64_e64 v[4:5], v[14:15]
	s_cbranch_execz .LBB3_1461
; %bb.1459:                             ;   in Loop: Header=BB3_3 Depth=1
	s_mov_b32 s7, 0
.LBB3_1460:                             ;   Parent Loop BB3_3 Depth=1
                                        ; =>  This Inner Loop Header: Depth=2
	v_dual_mov_b32 v2, s4 :: v_dual_mov_b32 v3, s5
	s_sleep 1
	global_store_b64 v[6:7], v[4:5], off
	global_wb scope:SCOPE_SYS
	s_wait_storecnt 0x0
	s_wait_xcnt 0x0
	global_atomic_cmpswap_b64 v[2:3], v53, v[2:5], s[2:3] offset:32 th:TH_ATOMIC_RETURN scope:SCOPE_SYS
	s_wait_loadcnt 0x0
	v_cmp_eq_u64_e32 vcc_lo, v[2:3], v[4:5]
	v_mov_b64_e32 v[4:5], v[2:3]
	s_or_b32 s7, vcc_lo, s7
	s_delay_alu instid0(SALU_CYCLE_1)
	s_and_not1_b32 exec_lo, exec_lo, s7
	s_cbranch_execnz .LBB3_1460
.LBB3_1461:                             ;   in Loop: Header=BB3_3 Depth=1
	s_or_b32 exec_lo, exec_lo, s6
	global_load_b64 v[2:3], v53, s[2:3] offset:16
	s_mov_b32 s7, exec_lo
	s_mov_b32 s6, exec_lo
	v_mbcnt_lo_u32_b32 v1, s7, 0
	s_wait_xcnt 0x0
	s_delay_alu instid0(VALU_DEP_1)
	v_cmpx_eq_u32_e32 0, v1
	s_cbranch_execz .LBB3_1463
; %bb.1462:                             ;   in Loop: Header=BB3_3 Depth=1
	s_bcnt1_i32_b32 s7, s7
	s_delay_alu instid0(SALU_CYCLE_1)
	v_dual_mov_b32 v5, v53 :: v_dual_mov_b32 v4, s7
	global_wb scope:SCOPE_SYS
	s_wait_loadcnt 0x0
	s_wait_storecnt 0x0
	global_atomic_add_u64 v[2:3], v[4:5], off offset:8 scope:SCOPE_SYS
.LBB3_1463:                             ;   in Loop: Header=BB3_3 Depth=1
	s_wait_xcnt 0x0
	s_or_b32 exec_lo, exec_lo, s6
	s_wait_loadcnt 0x0
	global_load_b64 v[4:5], v[2:3], off offset:16
	s_wait_loadcnt 0x0
	v_cmp_eq_u64_e32 vcc_lo, 0, v[4:5]
	s_cbranch_vccnz .LBB3_1465
; %bb.1464:                             ;   in Loop: Header=BB3_3 Depth=1
	global_load_b32 v2, v[2:3], off offset:24
	s_wait_xcnt 0x0
	v_mov_b32_e32 v3, v53
	s_wait_loadcnt 0x0
	v_readfirstlane_b32 s6, v2
	global_wb scope:SCOPE_SYS
	s_wait_storecnt 0x0
	global_store_b64 v[4:5], v[2:3], off scope:SCOPE_SYS
	s_and_b32 m0, s6, 0xffffff
	s_sendmsg sendmsg(MSG_INTERRUPT)
.LBB3_1465:                             ;   in Loop: Header=BB3_3 Depth=1
	s_wait_xcnt 0x0
	s_or_b32 exec_lo, exec_lo, s1
	v_mov_b32_e32 v23, v53
	s_delay_alu instid0(VALU_DEP_1)
	v_add_nc_u64_e32 v[2:3], v[8:9], v[22:23]
	s_branch .LBB3_1469
.LBB3_1466:                             ;   in Loop: Header=BB3_1469 Depth=2
	s_wait_xcnt 0x0
	s_or_b32 exec_lo, exec_lo, s1
	s_delay_alu instid0(VALU_DEP_1)
	v_readfirstlane_b32 s1, v1
	s_cmp_eq_u32 s1, 0
	s_cbranch_scc1 .LBB3_1468
; %bb.1467:                             ;   in Loop: Header=BB3_1469 Depth=2
	s_sleep 1
	s_cbranch_execnz .LBB3_1469
	s_branch .LBB3_1471
.LBB3_1468:                             ;   in Loop: Header=BB3_3 Depth=1
	s_branch .LBB3_1471
.LBB3_1469:                             ;   Parent Loop BB3_3 Depth=1
                                        ; =>  This Inner Loop Header: Depth=2
	v_mov_b32_e32 v1, 1
	s_and_saveexec_b32 s1, s0
	s_cbranch_execz .LBB3_1466
; %bb.1470:                             ;   in Loop: Header=BB3_1469 Depth=2
	global_load_b32 v1, v[10:11], off offset:20 scope:SCOPE_SYS
	s_wait_loadcnt 0x0
	global_inv scope:SCOPE_SYS
	v_and_b32_e32 v1, 1, v1
	s_branch .LBB3_1466
.LBB3_1471:                             ;   in Loop: Header=BB3_3 Depth=1
	global_load_b64 v[2:3], v[2:3], off
	s_wait_xcnt 0x0
	s_and_saveexec_b32 s6, s0
	s_cbranch_execz .LBB3_1475
; %bb.1472:                             ;   in Loop: Header=BB3_3 Depth=1
	s_clause 0x2
	global_load_b64 v[4:5], v53, s[2:3] offset:40
	global_load_b64 v[12:13], v53, s[2:3] offset:24 scope:SCOPE_SYS
	global_load_b64 v[6:7], v53, s[2:3]
	s_wait_loadcnt 0x2
	v_readfirstlane_b32 s8, v4
	v_readfirstlane_b32 s9, v5
	s_add_nc_u64 s[0:1], s[8:9], 1
	s_delay_alu instid0(SALU_CYCLE_1) | instskip(NEXT) | instid1(SALU_CYCLE_1)
	s_add_nc_u64 s[4:5], s[0:1], s[4:5]
	s_cmp_eq_u64 s[4:5], 0
	s_cselect_b32 s1, s1, s5
	s_cselect_b32 s0, s0, s4
	s_delay_alu instid0(SALU_CYCLE_1) | instskip(SKIP_1) | instid1(SALU_CYCLE_1)
	v_dual_mov_b32 v11, s1 :: v_dual_mov_b32 v10, s0
	s_and_b64 s[4:5], s[0:1], s[8:9]
	s_mul_u64 s[4:5], s[4:5], 24
	s_wait_loadcnt 0x0
	v_add_nc_u64_e32 v[8:9], s[4:5], v[6:7]
	global_store_b64 v[8:9], v[12:13], off
	global_wb scope:SCOPE_SYS
	s_wait_storecnt 0x0
	s_wait_xcnt 0x0
	global_atomic_cmpswap_b64 v[6:7], v53, v[10:13], s[2:3] offset:24 th:TH_ATOMIC_RETURN scope:SCOPE_SYS
	s_wait_loadcnt 0x0
	v_cmp_ne_u64_e32 vcc_lo, v[6:7], v[12:13]
	s_and_b32 exec_lo, exec_lo, vcc_lo
	s_cbranch_execz .LBB3_1475
; %bb.1473:                             ;   in Loop: Header=BB3_3 Depth=1
	s_mov_b32 s4, 0
.LBB3_1474:                             ;   Parent Loop BB3_3 Depth=1
                                        ; =>  This Inner Loop Header: Depth=2
	v_dual_mov_b32 v4, s0 :: v_dual_mov_b32 v5, s1
	s_sleep 1
	global_store_b64 v[8:9], v[6:7], off
	global_wb scope:SCOPE_SYS
	s_wait_storecnt 0x0
	s_wait_xcnt 0x0
	global_atomic_cmpswap_b64 v[4:5], v53, v[4:7], s[2:3] offset:24 th:TH_ATOMIC_RETURN scope:SCOPE_SYS
	s_wait_loadcnt 0x0
	v_cmp_eq_u64_e32 vcc_lo, v[4:5], v[6:7]
	v_mov_b64_e32 v[6:7], v[4:5]
	s_or_b32 s4, vcc_lo, s4
	s_delay_alu instid0(SALU_CYCLE_1)
	s_and_not1_b32 exec_lo, exec_lo, s4
	s_cbranch_execnz .LBB3_1474
.LBB3_1475:                             ;   in Loop: Header=BB3_3 Depth=1
	s_or_b32 exec_lo, exec_lo, s6
	v_readfirstlane_b32 s0, v80
	v_mov_b64_e32 v[4:5], 0
	s_delay_alu instid0(VALU_DEP_2)
	v_cmp_eq_u32_e64 s0, s0, v80
	s_and_saveexec_b32 s1, s0
	s_cbranch_execz .LBB3_1481
; %bb.1476:                             ;   in Loop: Header=BB3_3 Depth=1
	global_load_b64 v[6:7], v53, s[2:3] offset:24 scope:SCOPE_SYS
	s_wait_loadcnt 0x0
	global_inv scope:SCOPE_SYS
	s_clause 0x1
	global_load_b64 v[4:5], v53, s[2:3] offset:40
	global_load_b64 v[8:9], v53, s[2:3]
	s_mov_b32 s4, exec_lo
	s_wait_loadcnt 0x1
	v_and_b32_e32 v4, v4, v6
	v_and_b32_e32 v5, v5, v7
	s_delay_alu instid0(VALU_DEP_1) | instskip(SKIP_1) | instid1(VALU_DEP_1)
	v_mul_u64_e32 v[4:5], 24, v[4:5]
	s_wait_loadcnt 0x0
	v_add_nc_u64_e32 v[4:5], v[8:9], v[4:5]
	global_load_b64 v[4:5], v[4:5], off scope:SCOPE_SYS
	s_wait_xcnt 0x0
	s_wait_loadcnt 0x0
	global_atomic_cmpswap_b64 v[4:5], v53, v[4:7], s[2:3] offset:24 th:TH_ATOMIC_RETURN scope:SCOPE_SYS
	s_wait_loadcnt 0x0
	global_inv scope:SCOPE_SYS
	s_wait_xcnt 0x0
	v_cmpx_ne_u64_e64 v[4:5], v[6:7]
	s_cbranch_execz .LBB3_1480
; %bb.1477:                             ;   in Loop: Header=BB3_3 Depth=1
	s_mov_b32 s5, 0
.LBB3_1478:                             ;   Parent Loop BB3_3 Depth=1
                                        ; =>  This Inner Loop Header: Depth=2
	s_sleep 1
	s_clause 0x1
	global_load_b64 v[8:9], v53, s[2:3] offset:40
	global_load_b64 v[10:11], v53, s[2:3]
	v_mov_b64_e32 v[6:7], v[4:5]
	s_wait_loadcnt 0x1
	s_delay_alu instid0(VALU_DEP_1) | instskip(SKIP_1) | instid1(VALU_DEP_1)
	v_and_b32_e32 v1, v8, v6
	s_wait_loadcnt 0x0
	v_mad_nc_u64_u32 v[4:5], v1, 24, v[10:11]
	s_delay_alu instid0(VALU_DEP_3) | instskip(NEXT) | instid1(VALU_DEP_1)
	v_and_b32_e32 v1, v9, v7
	v_mad_u32 v5, v1, 24, v5
	global_load_b64 v[4:5], v[4:5], off scope:SCOPE_SYS
	s_wait_xcnt 0x0
	s_wait_loadcnt 0x0
	global_atomic_cmpswap_b64 v[4:5], v53, v[4:7], s[2:3] offset:24 th:TH_ATOMIC_RETURN scope:SCOPE_SYS
	s_wait_loadcnt 0x0
	global_inv scope:SCOPE_SYS
	v_cmp_eq_u64_e32 vcc_lo, v[4:5], v[6:7]
	s_or_b32 s5, vcc_lo, s5
	s_wait_xcnt 0x0
	s_and_not1_b32 exec_lo, exec_lo, s5
	s_cbranch_execnz .LBB3_1478
; %bb.1479:                             ;   in Loop: Header=BB3_3 Depth=1
	s_or_b32 exec_lo, exec_lo, s5
.LBB3_1480:                             ;   in Loop: Header=BB3_3 Depth=1
	s_delay_alu instid0(SALU_CYCLE_1)
	s_or_b32 exec_lo, exec_lo, s4
.LBB3_1481:                             ;   in Loop: Header=BB3_3 Depth=1
	s_delay_alu instid0(SALU_CYCLE_1)
	s_or_b32 exec_lo, exec_lo, s1
	s_clause 0x1
	global_load_b64 v[10:11], v53, s[2:3] offset:40
	global_load_b128 v[6:9], v53, s[2:3]
	v_readfirstlane_b32 s4, v4
	v_readfirstlane_b32 s5, v5
	s_mov_b32 s1, exec_lo
	s_wait_loadcnt 0x1
	v_and_b32_e32 v4, s4, v10
	v_and_b32_e32 v5, s5, v11
	s_delay_alu instid0(VALU_DEP_1) | instskip(SKIP_1) | instid1(VALU_DEP_1)
	v_mul_u64_e32 v[10:11], 24, v[4:5]
	s_wait_loadcnt 0x0
	v_add_nc_u64_e32 v[10:11], v[6:7], v[10:11]
	s_wait_xcnt 0x0
	s_and_saveexec_b32 s6, s0
	s_cbranch_execz .LBB3_1483
; %bb.1482:                             ;   in Loop: Header=BB3_3 Depth=1
	v_mov_b64_e32 v[14:15], v[54:55]
	v_dual_mov_b32 v12, s1 :: v_dual_mov_b32 v13, v53
	global_store_b128 v[10:11], v[12:15], off offset:8
.LBB3_1483:                             ;   in Loop: Header=BB3_3 Depth=1
	s_wait_xcnt 0x0
	s_or_b32 exec_lo, exec_lo, s6
	v_lshlrev_b64_e32 v[4:5], 12, v[4:5]
	s_mov_b32 s17, s16
	s_mov_b32 s18, s16
	;; [unrolled: 1-line block ×3, first 2 shown]
	v_mov_b64_e32 v[12:13], s[16:17]
	v_mov_b64_e32 v[14:15], s[18:19]
	v_and_or_b32 v2, 0xffffff1d, v2, 34
	v_add_nc_u64_e32 v[8:9], v[8:9], v[4:5]
	v_dual_mov_b32 v4, v0 :: v_dual_mov_b32 v5, v53
	s_delay_alu instid0(VALU_DEP_2) | instskip(NEXT) | instid1(VALU_DEP_3)
	v_readfirstlane_b32 s6, v8
	v_readfirstlane_b32 s7, v9
	s_clause 0x3
	global_store_b128 v22, v[2:5], s[6:7]
	global_store_b128 v22, v[12:15], s[6:7] offset:16
	global_store_b128 v22, v[12:15], s[6:7] offset:32
	;; [unrolled: 1-line block ×3, first 2 shown]
	s_wait_xcnt 0x0
	s_and_saveexec_b32 s1, s0
	s_cbranch_execz .LBB3_1491
; %bb.1484:                             ;   in Loop: Header=BB3_3 Depth=1
	s_clause 0x1
	global_load_b64 v[14:15], v53, s[2:3] offset:32 scope:SCOPE_SYS
	global_load_b64 v[0:1], v53, s[2:3] offset:40
	s_mov_b32 s6, exec_lo
	v_dual_mov_b32 v12, s4 :: v_dual_mov_b32 v13, s5
	s_wait_loadcnt 0x0
	v_and_b32_e32 v1, s5, v1
	v_and_b32_e32 v0, s4, v0
	s_delay_alu instid0(VALU_DEP_1) | instskip(NEXT) | instid1(VALU_DEP_1)
	v_mul_u64_e32 v[0:1], 24, v[0:1]
	v_add_nc_u64_e32 v[4:5], v[6:7], v[0:1]
	global_store_b64 v[4:5], v[14:15], off
	global_wb scope:SCOPE_SYS
	s_wait_storecnt 0x0
	s_wait_xcnt 0x0
	global_atomic_cmpswap_b64 v[2:3], v53, v[12:15], s[2:3] offset:32 th:TH_ATOMIC_RETURN scope:SCOPE_SYS
	s_wait_loadcnt 0x0
	v_cmpx_ne_u64_e64 v[2:3], v[14:15]
	s_cbranch_execz .LBB3_1487
; %bb.1485:                             ;   in Loop: Header=BB3_3 Depth=1
	s_mov_b32 s7, 0
.LBB3_1486:                             ;   Parent Loop BB3_3 Depth=1
                                        ; =>  This Inner Loop Header: Depth=2
	v_dual_mov_b32 v0, s4 :: v_dual_mov_b32 v1, s5
	s_sleep 1
	global_store_b64 v[4:5], v[2:3], off
	global_wb scope:SCOPE_SYS
	s_wait_storecnt 0x0
	s_wait_xcnt 0x0
	global_atomic_cmpswap_b64 v[0:1], v53, v[0:3], s[2:3] offset:32 th:TH_ATOMIC_RETURN scope:SCOPE_SYS
	s_wait_loadcnt 0x0
	v_cmp_eq_u64_e32 vcc_lo, v[0:1], v[2:3]
	v_mov_b64_e32 v[2:3], v[0:1]
	s_or_b32 s7, vcc_lo, s7
	s_delay_alu instid0(SALU_CYCLE_1)
	s_and_not1_b32 exec_lo, exec_lo, s7
	s_cbranch_execnz .LBB3_1486
.LBB3_1487:                             ;   in Loop: Header=BB3_3 Depth=1
	s_or_b32 exec_lo, exec_lo, s6
	global_load_b64 v[0:1], v53, s[2:3] offset:16
	s_mov_b32 s7, exec_lo
	s_mov_b32 s6, exec_lo
	v_mbcnt_lo_u32_b32 v2, s7, 0
	s_wait_xcnt 0x0
	s_delay_alu instid0(VALU_DEP_1)
	v_cmpx_eq_u32_e32 0, v2
	s_cbranch_execz .LBB3_1489
; %bb.1488:                             ;   in Loop: Header=BB3_3 Depth=1
	s_bcnt1_i32_b32 s7, s7
	s_delay_alu instid0(SALU_CYCLE_1)
	v_mov_b32_e32 v52, s7
	global_wb scope:SCOPE_SYS
	s_wait_loadcnt 0x0
	s_wait_storecnt 0x0
	global_atomic_add_u64 v[0:1], v[52:53], off offset:8 scope:SCOPE_SYS
.LBB3_1489:                             ;   in Loop: Header=BB3_3 Depth=1
	s_wait_xcnt 0x0
	s_or_b32 exec_lo, exec_lo, s6
	s_wait_loadcnt 0x0
	global_load_b64 v[2:3], v[0:1], off offset:16
	s_wait_loadcnt 0x0
	v_cmp_eq_u64_e32 vcc_lo, 0, v[2:3]
	s_cbranch_vccnz .LBB3_1491
; %bb.1490:                             ;   in Loop: Header=BB3_3 Depth=1
	global_load_b32 v52, v[0:1], off offset:24
	s_wait_loadcnt 0x0
	v_readfirstlane_b32 s6, v52
	global_wb scope:SCOPE_SYS
	s_wait_storecnt 0x0
	s_wait_xcnt 0x0
	global_store_b64 v[2:3], v[52:53], off scope:SCOPE_SYS
	s_and_b32 m0, s6, 0xffffff
	s_sendmsg sendmsg(MSG_INTERRUPT)
.LBB3_1491:                             ;   in Loop: Header=BB3_3 Depth=1
	s_wait_xcnt 0x0
	s_or_b32 exec_lo, exec_lo, s1
	v_mov_b32_e32 v23, v53
	s_delay_alu instid0(VALU_DEP_1)
	v_add_nc_u64_e32 v[0:1], v[8:9], v[22:23]
	s_branch .LBB3_1495
.LBB3_1492:                             ;   in Loop: Header=BB3_1495 Depth=2
	s_wait_xcnt 0x0
	s_or_b32 exec_lo, exec_lo, s1
	s_delay_alu instid0(VALU_DEP_1)
	v_readfirstlane_b32 s1, v2
	s_cmp_eq_u32 s1, 0
	s_cbranch_scc1 .LBB3_1494
; %bb.1493:                             ;   in Loop: Header=BB3_1495 Depth=2
	s_sleep 1
	s_cbranch_execnz .LBB3_1495
	s_branch .LBB3_1497
.LBB3_1494:                             ;   in Loop: Header=BB3_3 Depth=1
	s_branch .LBB3_1497
.LBB3_1495:                             ;   Parent Loop BB3_3 Depth=1
                                        ; =>  This Inner Loop Header: Depth=2
	v_mov_b32_e32 v2, 1
	s_and_saveexec_b32 s1, s0
	s_cbranch_execz .LBB3_1492
; %bb.1496:                             ;   in Loop: Header=BB3_1495 Depth=2
	global_load_b32 v2, v[10:11], off offset:20 scope:SCOPE_SYS
	s_wait_loadcnt 0x0
	global_inv scope:SCOPE_SYS
	v_and_b32_e32 v2, 1, v2
	s_branch .LBB3_1492
.LBB3_1497:                             ;   in Loop: Header=BB3_3 Depth=1
	global_load_b64 v[0:1], v[0:1], off
	s_wait_xcnt 0x0
	s_and_saveexec_b32 s6, s0
	s_cbranch_execz .LBB3_1501
; %bb.1498:                             ;   in Loop: Header=BB3_3 Depth=1
	s_clause 0x2
	global_load_b64 v[2:3], v53, s[2:3] offset:40
	global_load_b64 v[10:11], v53, s[2:3] offset:24 scope:SCOPE_SYS
	global_load_b64 v[4:5], v53, s[2:3]
	s_wait_loadcnt 0x2
	v_readfirstlane_b32 s8, v2
	v_readfirstlane_b32 s9, v3
	s_add_nc_u64 s[0:1], s[8:9], 1
	s_delay_alu instid0(SALU_CYCLE_1) | instskip(NEXT) | instid1(SALU_CYCLE_1)
	s_add_nc_u64 s[4:5], s[0:1], s[4:5]
	s_cmp_eq_u64 s[4:5], 0
	s_cselect_b32 s1, s1, s5
	s_cselect_b32 s0, s0, s4
	s_delay_alu instid0(SALU_CYCLE_1) | instskip(SKIP_1) | instid1(SALU_CYCLE_1)
	v_dual_mov_b32 v9, s1 :: v_dual_mov_b32 v8, s0
	s_and_b64 s[4:5], s[0:1], s[8:9]
	s_mul_u64 s[4:5], s[4:5], 24
	s_wait_loadcnt 0x0
	v_add_nc_u64_e32 v[6:7], s[4:5], v[4:5]
	global_store_b64 v[6:7], v[10:11], off
	global_wb scope:SCOPE_SYS
	s_wait_storecnt 0x0
	s_wait_xcnt 0x0
	global_atomic_cmpswap_b64 v[4:5], v53, v[8:11], s[2:3] offset:24 th:TH_ATOMIC_RETURN scope:SCOPE_SYS
	s_wait_loadcnt 0x0
	v_cmp_ne_u64_e32 vcc_lo, v[4:5], v[10:11]
	s_and_b32 exec_lo, exec_lo, vcc_lo
	s_cbranch_execz .LBB3_1501
; %bb.1499:                             ;   in Loop: Header=BB3_3 Depth=1
	s_mov_b32 s4, 0
.LBB3_1500:                             ;   Parent Loop BB3_3 Depth=1
                                        ; =>  This Inner Loop Header: Depth=2
	v_dual_mov_b32 v2, s0 :: v_dual_mov_b32 v3, s1
	s_sleep 1
	global_store_b64 v[6:7], v[4:5], off
	global_wb scope:SCOPE_SYS
	s_wait_storecnt 0x0
	s_wait_xcnt 0x0
	global_atomic_cmpswap_b64 v[2:3], v53, v[2:5], s[2:3] offset:24 th:TH_ATOMIC_RETURN scope:SCOPE_SYS
	s_wait_loadcnt 0x0
	v_cmp_eq_u64_e32 vcc_lo, v[2:3], v[4:5]
	v_mov_b64_e32 v[4:5], v[2:3]
	s_or_b32 s4, vcc_lo, s4
	s_delay_alu instid0(SALU_CYCLE_1)
	s_and_not1_b32 exec_lo, exec_lo, s4
	s_cbranch_execnz .LBB3_1500
.LBB3_1501:                             ;   in Loop: Header=BB3_3 Depth=1
	s_or_b32 exec_lo, exec_lo, s6
.LBB3_1502:                             ;   in Loop: Header=BB3_3 Depth=1
	s_delay_alu instid0(SALU_CYCLE_1)
	s_or_b32 exec_lo, exec_lo, s56
.LBB3_1503:                             ;   in Loop: Header=BB3_3 Depth=1
	s_delay_alu instid0(SALU_CYCLE_1)
	s_or_b32 exec_lo, exec_lo, s47
.LBB3_1504:                             ;   in Loop: Header=BB3_3 Depth=1
	s_delay_alu instid0(SALU_CYCLE_1)
	s_or_b32 exec_lo, exec_lo, s46
	s_wait_loadcnt 0x0
	v_add_nc_u32_e32 v48, v25, v0
	s_mov_b32 s17, 0
	s_mov_b64 s[0:1], s[42:43]
.LBB3_1505:                             ;   Parent Loop BB3_3 Depth=1
                                        ; =>  This Loop Header: Depth=2
                                        ;       Child Loop BB3_1530 Depth 3
	v_sub_co_u32 v0, s2, s17, 6
	s_and_b32 s2, s2, exec_lo
	v_readfirstlane_b32 s3, v0
	s_cselect_b32 s34, s17, s3
	s_delay_alu instid0(SALU_CYCLE_1)
	s_cmp_lt_i32 s34, 3
	s_cbranch_scc1 .LBB3_1512
; %bb.1506:                             ;   in Loop: Header=BB3_1505 Depth=2
	s_cmp_gt_i32 s34, 3
	s_cbranch_scc0 .LBB3_1513
; %bb.1507:                             ;   in Loop: Header=BB3_1505 Depth=2
	s_cmp_gt_i32 s34, 4
	s_cbranch_scc0 .LBB3_1514
; %bb.1508:                             ;   in Loop: Header=BB3_1505 Depth=2
	s_cmp_eq_u32 s34, 5
	s_mov_b32 s2, -1
	s_cbranch_scc0 .LBB3_1510
; %bb.1509:                             ;   in Loop: Header=BB3_1505 Depth=2
	s_mov_b32 s2, 0
.LBB3_1510:                             ;   in Loop: Header=BB3_1505 Depth=2
.LBB3_1511:                             ;   in Loop: Header=BB3_1505 Depth=2
	s_get_pc_i64 s[56:57]
	s_add_nc_u64 s[56:57], s[56:57], .str.11@rel64+4
	s_branch .LBB3_1516
.LBB3_1512:                             ;   in Loop: Header=BB3_1505 Depth=2
	s_mov_b32 s2, 0
                                        ; implicit-def: $sgpr56_sgpr57
	s_cbranch_execnz .LBB3_1519
	s_branch .LBB3_1526
.LBB3_1513:                             ;   in Loop: Header=BB3_1505 Depth=2
	s_mov_b32 s2, 0
                                        ; implicit-def: $sgpr56_sgpr57
	s_cbranch_execnz .LBB3_1517
	s_branch .LBB3_1518
.LBB3_1514:                             ;   in Loop: Header=BB3_1505 Depth=2
	s_mov_b32 s2, 0
	s_cbranch_execz .LBB3_1511
; %bb.1515:                             ;   in Loop: Header=BB3_1505 Depth=2
	s_get_pc_i64 s[56:57]
	s_add_nc_u64 s[56:57], s[56:57], .str.10@rel64+4
.LBB3_1516:                             ;   in Loop: Header=BB3_1505 Depth=2
	s_branch .LBB3_1518
.LBB3_1517:                             ;   in Loop: Header=BB3_1505 Depth=2
	s_get_pc_i64 s[56:57]
	s_add_nc_u64 s[56:57], s[56:57], .str.9@rel64+4
.LBB3_1518:                             ;   in Loop: Header=BB3_1505 Depth=2
	s_branch .LBB3_1526
.LBB3_1519:                             ;   in Loop: Header=BB3_1505 Depth=2
	s_cmp_gt_i32 s34, 0
	s_mov_b32 s3, -1
                                        ; implicit-def: $sgpr56_sgpr57
	s_cbranch_scc0 .LBB3_1524
; %bb.1520:                             ;   in Loop: Header=BB3_1505 Depth=2
	s_cmp_gt_i32 s34, 1
	s_cbranch_scc0 .LBB3_1522
; %bb.1521:                             ;   in Loop: Header=BB3_1505 Depth=2
	s_mov_b32 s3, 0
.LBB3_1522:                             ;   in Loop: Header=BB3_1505 Depth=2
	s_delay_alu instid0(SALU_CYCLE_1)
	s_and_not1_b32 vcc_lo, exec_lo, s3
	s_cbranch_vccnz .LBB3_1534
; %bb.1523:                             ;   in Loop: Header=BB3_1505 Depth=2
	s_get_pc_i64 s[56:57]
	s_add_nc_u64 s[56:57], s[56:57], .str.7@rel64+4
	s_mov_b32 s3, 0
.LBB3_1524:                             ;   in Loop: Header=BB3_1505 Depth=2
	s_delay_alu instid0(SALU_CYCLE_1)
	s_and_not1_b32 vcc_lo, exec_lo, s3
	s_cbranch_vccnz .LBB3_1526
.LBB3_1525:                             ;   in Loop: Header=BB3_1505 Depth=2
	s_cmp_lg_u32 s34, 0
	s_get_pc_i64 s[56:57]
	s_add_nc_u64 s[56:57], s[56:57], .str.6@rel64+4
	s_cselect_b32 s2, -1, 0
.LBB3_1526:                             ;   in Loop: Header=BB3_1505 Depth=2
	s_delay_alu instid0(SALU_CYCLE_1)
	s_and_b32 vcc_lo, exec_lo, s2
	s_cbranch_vccz .LBB3_1528
; %bb.1527:                             ;   in Loop: Header=BB3_1505 Depth=2
	s_mov_b64 s[56:57], s[0:1]
.LBB3_1528:                             ;   in Loop: Header=BB3_1505 Depth=2
	s_get_pc_i64 s[46:47]
	s_add_nc_u64 s[46:47], s[46:47], __ockl_printf_begin@rel64+4
	s_mov_b64 s[8:9], s[14:15]
	s_swap_pc_i64 s[30:31], s[46:47]
	s_get_pc_i64 s[0:1]
	s_add_nc_u64 s[0:1], s[0:1], .str.12@rel64+4
	v_dual_mov_b32 v4, s73 :: v_dual_mov_b32 v5, v53
	v_dual_mov_b32 v2, s0 :: v_dual_mov_b32 v3, s1
	s_get_pc_i64 s[18:19]
	s_add_nc_u64 s[18:19], s[18:19], __ockl_printf_append_string_n@rel64+4
	s_mov_b64 s[8:9], s[14:15]
	s_swap_pc_i64 s[30:31], s[18:19]
	v_dual_mov_b32 v2, v50 :: v_dual_mov_b32 v3, v53
	v_mov_b32_e32 v4, v53
	s_mov_b64 s[8:9], s[14:15]
	s_swap_pc_i64 s[30:31], s[44:45]
	s_cmp_eq_u64 s[56:57], 0
	s_mov_b64 s[0:1], 0
	s_cbranch_scc1 .LBB3_1532
; %bb.1529:                             ;   in Loop: Header=BB3_1505 Depth=2
	s_add_nc_u64 s[0:1], s[56:57], -1
.LBB3_1530:                             ;   Parent Loop BB3_3 Depth=1
                                        ;     Parent Loop BB3_1505 Depth=2
                                        ; =>    This Inner Loop Header: Depth=3
	s_load_u8 s2, s[0:1], 0x1
	s_wait_xcnt 0x0
	s_add_nc_u64 s[0:1], s[0:1], 1
	s_wait_kmcnt 0x0
	s_cmp_lg_u32 s2, 0
	s_cbranch_scc1 .LBB3_1530
; %bb.1531:                             ;   in Loop: Header=BB3_1505 Depth=2
	s_sub_nc_u64 s[0:1], s[0:1], s[56:57]
	s_delay_alu instid0(SALU_CYCLE_1)
	s_add_nc_u64 s[0:1], s[0:1], 1
.LBB3_1532:                             ;   in Loop: Header=BB3_1505 Depth=2
	v_dual_mov_b32 v2, s56 :: v_dual_mov_b32 v3, s57
	v_dual_mov_b32 v4, s0 :: v_dual_mov_b32 v5, s1
	s_mov_b64 s[8:9], s[14:15]
	s_swap_pc_i64 s[30:31], s[18:19]
	v_dual_mov_b32 v2, s34 :: v_dual_mov_b32 v3, v53
	v_mov_b32_e32 v4, 1
	s_mov_b64 s[8:9], s[14:15]
	s_swap_pc_i64 s[30:31], s[44:45]
	v_add_nc_u32_e32 v48, v48, v0
	s_add_co_i32 s17, s17, 1
	s_delay_alu instid0(SALU_CYCLE_1)
	s_cmp_eq_u32 s17, 12
	s_cbranch_scc1 .LBB3_2
; %bb.1533:                             ;   in Loop: Header=BB3_1505 Depth=2
	s_mov_b64 s[0:1], s[56:57]
	s_branch .LBB3_1505
.LBB3_1534:                             ;   in Loop: Header=BB3_1505 Depth=2
	s_get_pc_i64 s[56:57]
	s_add_nc_u64 s[56:57], s[56:57], .str.8@rel64+4
	s_cbranch_execz .LBB3_1525
	s_branch .LBB3_1526
.LBB3_1535:
	s_or_b32 exec_lo, exec_lo, s58
	v_readlane_b32 s30, v40, 1
	v_readlane_b32 s31, v40, 2
	;; [unrolled: 1-line block ×3, first 2 shown]
	s_mov_b32 s32, s33
	v_readlane_b32 s0, v40, 3
	s_or_saveexec_b32 s1, -1
	scratch_load_b32 v40, off, s33          ; 4-byte Folded Reload
	s_wait_xcnt 0x0
	s_mov_b32 exec_lo, s1
	s_mov_b32 s33, s0
	s_wait_loadcnt 0x0
	s_set_pc_i64 s[30:31]
.Lfunc_end3:
	.size	_ZN19hipPrintfStressTest10startPrintEjjPjS0_, .Lfunc_end3-_ZN19hipPrintfStressTest10startPrintEjjPjS0_
                                        ; -- End function
	.set .L_ZN19hipPrintfStressTest10startPrintEjjPjS0_.num_vgpr, max(81, .L__ockl_printf_begin.num_vgpr, .L__ockl_printf_append_string_n.num_vgpr, .L__ockl_printf_append_args.num_vgpr)
	.set .L_ZN19hipPrintfStressTest10startPrintEjjPjS0_.num_agpr, max(0, .L__ockl_printf_begin.num_agpr, .L__ockl_printf_append_string_n.num_agpr, .L__ockl_printf_append_args.num_agpr)
	.set .L_ZN19hipPrintfStressTest10startPrintEjjPjS0_.numbered_sgpr, max(96, .L__ockl_printf_begin.numbered_sgpr, .L__ockl_printf_append_string_n.numbered_sgpr, .L__ockl_printf_append_args.numbered_sgpr)
	.set .L_ZN19hipPrintfStressTest10startPrintEjjPjS0_.num_named_barrier, max(0, .L__ockl_printf_begin.num_named_barrier, .L__ockl_printf_append_string_n.num_named_barrier, .L__ockl_printf_append_args.num_named_barrier)
	.set .L_ZN19hipPrintfStressTest10startPrintEjjPjS0_.private_seg_size, 16+max(.L__ockl_printf_begin.private_seg_size, .L__ockl_printf_append_string_n.private_seg_size, .L__ockl_printf_append_args.private_seg_size)
	.set .L_ZN19hipPrintfStressTest10startPrintEjjPjS0_.uses_vcc, or(1, .L__ockl_printf_begin.uses_vcc, .L__ockl_printf_append_string_n.uses_vcc, .L__ockl_printf_append_args.uses_vcc)
	.set .L_ZN19hipPrintfStressTest10startPrintEjjPjS0_.uses_flat_scratch, or(0, .L__ockl_printf_begin.uses_flat_scratch, .L__ockl_printf_append_string_n.uses_flat_scratch, .L__ockl_printf_append_args.uses_flat_scratch)
	.set .L_ZN19hipPrintfStressTest10startPrintEjjPjS0_.has_dyn_sized_stack, or(0, .L__ockl_printf_begin.has_dyn_sized_stack, .L__ockl_printf_append_string_n.has_dyn_sized_stack, .L__ockl_printf_append_args.has_dyn_sized_stack)
	.set .L_ZN19hipPrintfStressTest10startPrintEjjPjS0_.has_recursion, or(0, .L__ockl_printf_begin.has_recursion, .L__ockl_printf_append_string_n.has_recursion, .L__ockl_printf_append_args.has_recursion)
	.set .L_ZN19hipPrintfStressTest10startPrintEjjPjS0_.has_indirect_call, or(0, .L__ockl_printf_begin.has_indirect_call, .L__ockl_printf_append_string_n.has_indirect_call, .L__ockl_printf_append_args.has_indirect_call)
	.section	.AMDGPU.csdata,"",@progbits
; Function info:
; codeLenInByte = 71480
; TotalNumSgprs: 98
; NumVgprs: 81
; ScratchSize: 16
; MemoryBound: 0
	.text
	.protected	_ZN19hipPrintfStressTest18kernel_complex_opXEPjS0_j ; -- Begin function _ZN19hipPrintfStressTest18kernel_complex_opXEPjS0_j
	.globl	_ZN19hipPrintfStressTest18kernel_complex_opXEPjS0_j
	.p2align	8
	.type	_ZN19hipPrintfStressTest18kernel_complex_opXEPjS0_j,@function
_ZN19hipPrintfStressTest18kernel_complex_opXEPjS0_j: ; @_ZN19hipPrintfStressTest18kernel_complex_opXEPjS0_j
; %bb.0:
	s_clause 0x2
	s_load_b32 s2, s[0:1], 0x24
	s_load_b128 s[4:7], s[0:1], 0x0
	s_load_b32 s10, s[0:1], 0x10
	s_bfe_u32 s3, ttmp6, 0x4000c
	s_and_b32 s8, ttmp6, 15
	s_add_co_i32 s3, s3, 1
	s_getreg_b32 s9, hwreg(HW_REG_IB_STS2, 6, 4)
	s_mul_i32 s3, ttmp9, s3
	s_mov_b32 s32, 0
	s_add_co_i32 s8, s8, s3
	s_wait_kmcnt 0x0
	s_and_b32 s2, s2, 0xffff
	s_cmp_eq_u32 s9, 0
	v_dual_mov_b32 v1, s10 :: v_dual_mov_b32 v2, s4
	s_cselect_b32 s3, ttmp9, s8
	v_dual_mov_b32 v3, s5 :: v_dual_mov_b32 v4, s6
	v_mad_u32 v0, s3, s2, v0
	v_mov_b32_e32 v5, s7
	s_get_pc_i64 s[2:3]
	s_add_nc_u64 s[2:3], s[2:3], _ZN19hipPrintfStressTest10startPrintEjjPjS0_@rel64+4
	s_add_nc_u64 s[8:9], s[0:1], 24
	s_swap_pc_i64 s[30:31], s[2:3]
	s_endpgm
	.section	.rodata,"a",@progbits
	.p2align	6, 0x0
	.amdhsa_kernel _ZN19hipPrintfStressTest18kernel_complex_opXEPjS0_j
		.amdhsa_group_segment_fixed_size 0
		.amdhsa_private_segment_fixed_size 16
		.amdhsa_kernarg_size 280
		.amdhsa_user_sgpr_count 2
		.amdhsa_user_sgpr_dispatch_ptr 0
		.amdhsa_user_sgpr_queue_ptr 0
		.amdhsa_user_sgpr_kernarg_segment_ptr 1
		.amdhsa_user_sgpr_dispatch_id 0
		.amdhsa_user_sgpr_kernarg_preload_length 0
		.amdhsa_user_sgpr_kernarg_preload_offset 0
		.amdhsa_user_sgpr_private_segment_size 0
		.amdhsa_wavefront_size32 1
		.amdhsa_uses_dynamic_stack 0
		.amdhsa_enable_private_segment 1
		.amdhsa_system_sgpr_workgroup_id_x 1
		.amdhsa_system_sgpr_workgroup_id_y 0
		.amdhsa_system_sgpr_workgroup_id_z 0
		.amdhsa_system_sgpr_workgroup_info 0
		.amdhsa_system_vgpr_workitem_id 0
		.amdhsa_next_free_vgpr 81
		.amdhsa_next_free_sgpr 96
		.amdhsa_named_barrier_count 0
		.amdhsa_reserve_vcc 1
		.amdhsa_float_round_mode_32 0
		.amdhsa_float_round_mode_16_64 0
		.amdhsa_float_denorm_mode_32 3
		.amdhsa_float_denorm_mode_16_64 3
		.amdhsa_fp16_overflow 0
		.amdhsa_memory_ordered 1
		.amdhsa_forward_progress 1
		.amdhsa_inst_pref_size 2
		.amdhsa_round_robin_scheduling 0
		.amdhsa_exception_fp_ieee_invalid_op 0
		.amdhsa_exception_fp_denorm_src 0
		.amdhsa_exception_fp_ieee_div_zero 0
		.amdhsa_exception_fp_ieee_overflow 0
		.amdhsa_exception_fp_ieee_underflow 0
		.amdhsa_exception_fp_ieee_inexact 0
		.amdhsa_exception_int_div_zero 0
	.end_amdhsa_kernel
	.text
.Lfunc_end4:
	.size	_ZN19hipPrintfStressTest18kernel_complex_opXEPjS0_j, .Lfunc_end4-_ZN19hipPrintfStressTest18kernel_complex_opXEPjS0_j
                                        ; -- End function
	.set _ZN19hipPrintfStressTest18kernel_complex_opXEPjS0_j.num_vgpr, max(6, .L_ZN19hipPrintfStressTest10startPrintEjjPjS0_.num_vgpr)
	.set _ZN19hipPrintfStressTest18kernel_complex_opXEPjS0_j.num_agpr, max(0, .L_ZN19hipPrintfStressTest10startPrintEjjPjS0_.num_agpr)
	.set _ZN19hipPrintfStressTest18kernel_complex_opXEPjS0_j.numbered_sgpr, max(33, .L_ZN19hipPrintfStressTest10startPrintEjjPjS0_.numbered_sgpr)
	.set _ZN19hipPrintfStressTest18kernel_complex_opXEPjS0_j.num_named_barrier, max(0, .L_ZN19hipPrintfStressTest10startPrintEjjPjS0_.num_named_barrier)
	.set _ZN19hipPrintfStressTest18kernel_complex_opXEPjS0_j.private_seg_size, 0+max(.L_ZN19hipPrintfStressTest10startPrintEjjPjS0_.private_seg_size)
	.set _ZN19hipPrintfStressTest18kernel_complex_opXEPjS0_j.uses_vcc, or(1, .L_ZN19hipPrintfStressTest10startPrintEjjPjS0_.uses_vcc)
	.set _ZN19hipPrintfStressTest18kernel_complex_opXEPjS0_j.uses_flat_scratch, or(0, .L_ZN19hipPrintfStressTest10startPrintEjjPjS0_.uses_flat_scratch)
	.set _ZN19hipPrintfStressTest18kernel_complex_opXEPjS0_j.has_dyn_sized_stack, or(0, .L_ZN19hipPrintfStressTest10startPrintEjjPjS0_.has_dyn_sized_stack)
	.set _ZN19hipPrintfStressTest18kernel_complex_opXEPjS0_j.has_recursion, or(0, .L_ZN19hipPrintfStressTest10startPrintEjjPjS0_.has_recursion)
	.set _ZN19hipPrintfStressTest18kernel_complex_opXEPjS0_j.has_indirect_call, or(0, .L_ZN19hipPrintfStressTest10startPrintEjjPjS0_.has_indirect_call)
	.section	.AMDGPU.csdata,"",@progbits
; Kernel info:
; codeLenInByte = 136
; TotalNumSgprs: 98
; NumVgprs: 81
; ScratchSize: 16
; MemoryBound: 0
; FloatMode: 240
; IeeeMode: 1
; LDSByteSize: 0 bytes/workgroup (compile time only)
; SGPRBlocks: 0
; VGPRBlocks: 5
; NumSGPRsForWavesPerEU: 98
; NumVGPRsForWavesPerEU: 81
; NamedBarCnt: 0
; Occupancy: 10
; WaveLimiterHint : 1
; COMPUTE_PGM_RSRC2:SCRATCH_EN: 1
; COMPUTE_PGM_RSRC2:USER_SGPR: 2
; COMPUTE_PGM_RSRC2:TRAP_HANDLER: 0
; COMPUTE_PGM_RSRC2:TGID_X_EN: 1
; COMPUTE_PGM_RSRC2:TGID_Y_EN: 0
; COMPUTE_PGM_RSRC2:TGID_Z_EN: 0
; COMPUTE_PGM_RSRC2:TIDIG_COMP_CNT: 0
	.text
	.protected	_ZN19hipPrintfStressTest18kernel_complex_opYEPjS0_j ; -- Begin function _ZN19hipPrintfStressTest18kernel_complex_opYEPjS0_j
	.globl	_ZN19hipPrintfStressTest18kernel_complex_opYEPjS0_j
	.p2align	8
	.type	_ZN19hipPrintfStressTest18kernel_complex_opYEPjS0_j,@function
_ZN19hipPrintfStressTest18kernel_complex_opYEPjS0_j: ; @_ZN19hipPrintfStressTest18kernel_complex_opYEPjS0_j
; %bb.0:
	s_clause 0x2
	s_load_u16 s2, s[0:1], 0x26
	s_load_b32 s10, s[0:1], 0x10
	s_load_b128 s[4:7], s[0:1], 0x0
	s_bfe_u32 s3, ttmp6, 0x40010
	s_bfe_u32 s8, ttmp6, 0x40004
	s_add_co_i32 s3, s3, 1
	s_getreg_b32 s9, hwreg(HW_REG_IB_STS2, 6, 4)
	s_mul_i32 s3, ttmp7, s3
	v_bfe_u32 v0, v0, 10, 10
	s_add_co_i32 s8, s8, s3
	s_cmp_eq_u32 s9, 0
	s_mov_b32 s32, 0
	s_cselect_b32 s3, ttmp7, s8
	s_add_nc_u64 s[8:9], s[0:1], 24
	s_wait_kmcnt 0x0
	v_mad_u32 v0, s3, s2, v0
	v_dual_mov_b32 v1, s10 :: v_dual_mov_b32 v2, s4
	v_dual_mov_b32 v3, s5 :: v_dual_mov_b32 v4, s6
	v_mov_b32_e32 v5, s7
	s_get_pc_i64 s[2:3]
	s_add_nc_u64 s[2:3], s[2:3], _ZN19hipPrintfStressTest10startPrintEjjPjS0_@rel64+4
	s_delay_alu instid0(SALU_CYCLE_1)
	s_swap_pc_i64 s[30:31], s[2:3]
	s_endpgm
	.section	.rodata,"a",@progbits
	.p2align	6, 0x0
	.amdhsa_kernel _ZN19hipPrintfStressTest18kernel_complex_opYEPjS0_j
		.amdhsa_group_segment_fixed_size 0
		.amdhsa_private_segment_fixed_size 16
		.amdhsa_kernarg_size 280
		.amdhsa_user_sgpr_count 2
		.amdhsa_user_sgpr_dispatch_ptr 0
		.amdhsa_user_sgpr_queue_ptr 0
		.amdhsa_user_sgpr_kernarg_segment_ptr 1
		.amdhsa_user_sgpr_dispatch_id 0
		.amdhsa_user_sgpr_kernarg_preload_length 0
		.amdhsa_user_sgpr_kernarg_preload_offset 0
		.amdhsa_user_sgpr_private_segment_size 0
		.amdhsa_wavefront_size32 1
		.amdhsa_uses_dynamic_stack 0
		.amdhsa_enable_private_segment 1
		.amdhsa_system_sgpr_workgroup_id_x 1
		.amdhsa_system_sgpr_workgroup_id_y 1
		.amdhsa_system_sgpr_workgroup_id_z 0
		.amdhsa_system_sgpr_workgroup_info 0
		.amdhsa_system_vgpr_workitem_id 1
		.amdhsa_next_free_vgpr 81
		.amdhsa_next_free_sgpr 96
		.amdhsa_named_barrier_count 0
		.amdhsa_reserve_vcc 1
		.amdhsa_float_round_mode_32 0
		.amdhsa_float_round_mode_16_64 0
		.amdhsa_float_denorm_mode_32 3
		.amdhsa_float_denorm_mode_16_64 3
		.amdhsa_fp16_overflow 0
		.amdhsa_memory_ordered 1
		.amdhsa_forward_progress 1
		.amdhsa_inst_pref_size 2
		.amdhsa_round_robin_scheduling 0
		.amdhsa_exception_fp_ieee_invalid_op 0
		.amdhsa_exception_fp_denorm_src 0
		.amdhsa_exception_fp_ieee_div_zero 0
		.amdhsa_exception_fp_ieee_overflow 0
		.amdhsa_exception_fp_ieee_underflow 0
		.amdhsa_exception_fp_ieee_inexact 0
		.amdhsa_exception_int_div_zero 0
	.end_amdhsa_kernel
	.text
.Lfunc_end5:
	.size	_ZN19hipPrintfStressTest18kernel_complex_opYEPjS0_j, .Lfunc_end5-_ZN19hipPrintfStressTest18kernel_complex_opYEPjS0_j
                                        ; -- End function
	.set _ZN19hipPrintfStressTest18kernel_complex_opYEPjS0_j.num_vgpr, max(6, .L_ZN19hipPrintfStressTest10startPrintEjjPjS0_.num_vgpr)
	.set _ZN19hipPrintfStressTest18kernel_complex_opYEPjS0_j.num_agpr, max(0, .L_ZN19hipPrintfStressTest10startPrintEjjPjS0_.num_agpr)
	.set _ZN19hipPrintfStressTest18kernel_complex_opYEPjS0_j.numbered_sgpr, max(33, .L_ZN19hipPrintfStressTest10startPrintEjjPjS0_.numbered_sgpr)
	.set _ZN19hipPrintfStressTest18kernel_complex_opYEPjS0_j.num_named_barrier, max(0, .L_ZN19hipPrintfStressTest10startPrintEjjPjS0_.num_named_barrier)
	.set _ZN19hipPrintfStressTest18kernel_complex_opYEPjS0_j.private_seg_size, 0+max(.L_ZN19hipPrintfStressTest10startPrintEjjPjS0_.private_seg_size)
	.set _ZN19hipPrintfStressTest18kernel_complex_opYEPjS0_j.uses_vcc, or(1, .L_ZN19hipPrintfStressTest10startPrintEjjPjS0_.uses_vcc)
	.set _ZN19hipPrintfStressTest18kernel_complex_opYEPjS0_j.uses_flat_scratch, or(0, .L_ZN19hipPrintfStressTest10startPrintEjjPjS0_.uses_flat_scratch)
	.set _ZN19hipPrintfStressTest18kernel_complex_opYEPjS0_j.has_dyn_sized_stack, or(0, .L_ZN19hipPrintfStressTest10startPrintEjjPjS0_.has_dyn_sized_stack)
	.set _ZN19hipPrintfStressTest18kernel_complex_opYEPjS0_j.has_recursion, or(0, .L_ZN19hipPrintfStressTest10startPrintEjjPjS0_.has_recursion)
	.set _ZN19hipPrintfStressTest18kernel_complex_opYEPjS0_j.has_indirect_call, or(0, .L_ZN19hipPrintfStressTest10startPrintEjjPjS0_.has_indirect_call)
	.section	.AMDGPU.csdata,"",@progbits
; Kernel info:
; codeLenInByte = 144
; TotalNumSgprs: 98
; NumVgprs: 81
; ScratchSize: 16
; MemoryBound: 0
; FloatMode: 240
; IeeeMode: 1
; LDSByteSize: 0 bytes/workgroup (compile time only)
; SGPRBlocks: 0
; VGPRBlocks: 5
; NumSGPRsForWavesPerEU: 98
; NumVGPRsForWavesPerEU: 81
; NamedBarCnt: 0
; Occupancy: 10
; WaveLimiterHint : 1
; COMPUTE_PGM_RSRC2:SCRATCH_EN: 1
; COMPUTE_PGM_RSRC2:USER_SGPR: 2
; COMPUTE_PGM_RSRC2:TRAP_HANDLER: 0
; COMPUTE_PGM_RSRC2:TGID_X_EN: 1
; COMPUTE_PGM_RSRC2:TGID_Y_EN: 1
; COMPUTE_PGM_RSRC2:TGID_Z_EN: 0
; COMPUTE_PGM_RSRC2:TIDIG_COMP_CNT: 1
	.text
	.protected	_ZN19hipPrintfStressTest18kernel_complex_opZEPjS0_j ; -- Begin function _ZN19hipPrintfStressTest18kernel_complex_opZEPjS0_j
	.globl	_ZN19hipPrintfStressTest18kernel_complex_opZEPjS0_j
	.p2align	8
	.type	_ZN19hipPrintfStressTest18kernel_complex_opZEPjS0_j,@function
_ZN19hipPrintfStressTest18kernel_complex_opZEPjS0_j: ; @_ZN19hipPrintfStressTest18kernel_complex_opZEPjS0_j
; %bb.0:
	s_clause 0x2
	s_load_b32 s2, s[0:1], 0x28
	s_load_b128 s[4:7], s[0:1], 0x0
	s_load_b32 s10, s[0:1], 0x10
	s_bfe_u32 s8, ttmp6, 0x40014
	s_lshr_b32 s3, ttmp7, 16
	s_add_co_i32 s8, s8, 1
	s_bfe_u32 s9, ttmp6, 0x40008
	s_mul_i32 s8, s3, s8
	s_getreg_b32 s11, hwreg(HW_REG_IB_STS2, 6, 4)
	v_bfe_u32 v0, v0, 20, 10
	s_add_co_i32 s9, s9, s8
	s_mov_b32 s32, 0
	s_wait_kmcnt 0x0
	s_and_b32 s2, s2, 0xffff
	s_cmp_eq_u32 s11, 0
	v_dual_mov_b32 v1, s10 :: v_dual_mov_b32 v2, s4
	s_cselect_b32 s3, s3, s9
	v_dual_mov_b32 v3, s5 :: v_dual_mov_b32 v4, s6
	v_mad_u32 v0, s3, s2, v0
	v_mov_b32_e32 v5, s7
	s_get_pc_i64 s[2:3]
	s_add_nc_u64 s[2:3], s[2:3], _ZN19hipPrintfStressTest10startPrintEjjPjS0_@rel64+4
	s_add_nc_u64 s[8:9], s[0:1], 24
	s_swap_pc_i64 s[30:31], s[2:3]
	s_endpgm
	.section	.rodata,"a",@progbits
	.p2align	6, 0x0
	.amdhsa_kernel _ZN19hipPrintfStressTest18kernel_complex_opZEPjS0_j
		.amdhsa_group_segment_fixed_size 0
		.amdhsa_private_segment_fixed_size 16
		.amdhsa_kernarg_size 280
		.amdhsa_user_sgpr_count 2
		.amdhsa_user_sgpr_dispatch_ptr 0
		.amdhsa_user_sgpr_queue_ptr 0
		.amdhsa_user_sgpr_kernarg_segment_ptr 1
		.amdhsa_user_sgpr_dispatch_id 0
		.amdhsa_user_sgpr_kernarg_preload_length 0
		.amdhsa_user_sgpr_kernarg_preload_offset 0
		.amdhsa_user_sgpr_private_segment_size 0
		.amdhsa_wavefront_size32 1
		.amdhsa_uses_dynamic_stack 0
		.amdhsa_enable_private_segment 1
		.amdhsa_system_sgpr_workgroup_id_x 1
		.amdhsa_system_sgpr_workgroup_id_y 0
		.amdhsa_system_sgpr_workgroup_id_z 1
		.amdhsa_system_sgpr_workgroup_info 0
		.amdhsa_system_vgpr_workitem_id 2
		.amdhsa_next_free_vgpr 81
		.amdhsa_next_free_sgpr 96
		.amdhsa_named_barrier_count 0
		.amdhsa_reserve_vcc 1
		.amdhsa_float_round_mode_32 0
		.amdhsa_float_round_mode_16_64 0
		.amdhsa_float_denorm_mode_32 3
		.amdhsa_float_denorm_mode_16_64 3
		.amdhsa_fp16_overflow 0
		.amdhsa_memory_ordered 1
		.amdhsa_forward_progress 1
		.amdhsa_inst_pref_size 2
		.amdhsa_round_robin_scheduling 0
		.amdhsa_exception_fp_ieee_invalid_op 0
		.amdhsa_exception_fp_denorm_src 0
		.amdhsa_exception_fp_ieee_div_zero 0
		.amdhsa_exception_fp_ieee_overflow 0
		.amdhsa_exception_fp_ieee_underflow 0
		.amdhsa_exception_fp_ieee_inexact 0
		.amdhsa_exception_int_div_zero 0
	.end_amdhsa_kernel
	.text
.Lfunc_end6:
	.size	_ZN19hipPrintfStressTest18kernel_complex_opZEPjS0_j, .Lfunc_end6-_ZN19hipPrintfStressTest18kernel_complex_opZEPjS0_j
                                        ; -- End function
	.set _ZN19hipPrintfStressTest18kernel_complex_opZEPjS0_j.num_vgpr, max(6, .L_ZN19hipPrintfStressTest10startPrintEjjPjS0_.num_vgpr)
	.set _ZN19hipPrintfStressTest18kernel_complex_opZEPjS0_j.num_agpr, max(0, .L_ZN19hipPrintfStressTest10startPrintEjjPjS0_.num_agpr)
	.set _ZN19hipPrintfStressTest18kernel_complex_opZEPjS0_j.numbered_sgpr, max(33, .L_ZN19hipPrintfStressTest10startPrintEjjPjS0_.numbered_sgpr)
	.set _ZN19hipPrintfStressTest18kernel_complex_opZEPjS0_j.num_named_barrier, max(0, .L_ZN19hipPrintfStressTest10startPrintEjjPjS0_.num_named_barrier)
	.set _ZN19hipPrintfStressTest18kernel_complex_opZEPjS0_j.private_seg_size, 0+max(.L_ZN19hipPrintfStressTest10startPrintEjjPjS0_.private_seg_size)
	.set _ZN19hipPrintfStressTest18kernel_complex_opZEPjS0_j.uses_vcc, or(1, .L_ZN19hipPrintfStressTest10startPrintEjjPjS0_.uses_vcc)
	.set _ZN19hipPrintfStressTest18kernel_complex_opZEPjS0_j.uses_flat_scratch, or(0, .L_ZN19hipPrintfStressTest10startPrintEjjPjS0_.uses_flat_scratch)
	.set _ZN19hipPrintfStressTest18kernel_complex_opZEPjS0_j.has_dyn_sized_stack, or(0, .L_ZN19hipPrintfStressTest10startPrintEjjPjS0_.has_dyn_sized_stack)
	.set _ZN19hipPrintfStressTest18kernel_complex_opZEPjS0_j.has_recursion, or(0, .L_ZN19hipPrintfStressTest10startPrintEjjPjS0_.has_recursion)
	.set _ZN19hipPrintfStressTest18kernel_complex_opZEPjS0_j.has_indirect_call, or(0, .L_ZN19hipPrintfStressTest10startPrintEjjPjS0_.has_indirect_call)
	.section	.AMDGPU.csdata,"",@progbits
; Kernel info:
; codeLenInByte = 152
; TotalNumSgprs: 98
; NumVgprs: 81
; ScratchSize: 16
; MemoryBound: 0
; FloatMode: 240
; IeeeMode: 1
; LDSByteSize: 0 bytes/workgroup (compile time only)
; SGPRBlocks: 0
; VGPRBlocks: 5
; NumSGPRsForWavesPerEU: 98
; NumVGPRsForWavesPerEU: 81
; NamedBarCnt: 0
; Occupancy: 10
; WaveLimiterHint : 1
; COMPUTE_PGM_RSRC2:SCRATCH_EN: 1
; COMPUTE_PGM_RSRC2:USER_SGPR: 2
; COMPUTE_PGM_RSRC2:TRAP_HANDLER: 0
; COMPUTE_PGM_RSRC2:TGID_X_EN: 1
; COMPUTE_PGM_RSRC2:TGID_Y_EN: 0
; COMPUTE_PGM_RSRC2:TGID_Z_EN: 1
; COMPUTE_PGM_RSRC2:TIDIG_COMP_CNT: 2
	.text
	.p2alignl 7, 3214868480
	.fill 96, 4, 3214868480
	.section	.AMDGPU.gpr_maximums,"",@progbits
	.set amdgpu.max_num_vgpr, 81
	.set amdgpu.max_num_agpr, 0
	.set amdgpu.max_num_sgpr, 96
	.text
	.type	.str,@object                    ; @.str
	.section	.rodata.str1.1,"aMS",@progbits,1
.str:
	.asciz	"tid %u: Value of result=%u or %x\n"
	.size	.str, 34

	.type	.str.1,@object                  ; @.str.1
.str.1:
	.asciz	"tid %u: Value of result=%u or %x \n"
	.size	.str.1, 35

	.type	.str.2,@object                  ; @.str.2
.str.2:
	.asciz	"tid %u: Value of result=%d or %x\n"
	.size	.str.2, 34

	.type	.str.3,@object                  ; @.str.3
.str.3:
	.asciz	"tid %u: Value of result[%d] = %.2f or %.2e\n"
	.size	.str.3, 44

	.type	.str.4,@object                  ; @.str.4
.str.4:
	.asciz	"tid %u: Value of result[%d] = %.4f or %.4e \n"
	.size	.str.4, 45

	.type	.str.5,@object                  ; @.str.5
.str.5:
	.asciz	"tid %u: Value of result[%d] = %.6f or %.6e \n"
	.size	.str.5, 45

	.type	.str.6,@object                  ; @.str.6
.str.6:
	.asciz	"jhwehde2hl"
	.size	.str.6, 11

	.type	.str.7,@object                  ; @.str.7
.str.7:
	.asciz	"jhwehde2hlmc,prmlsl4"
	.size	.str.7, 21

	.type	.str.8,@object                  ; @.str.8
.str.8:
	.asciz	"xkdojdewnd34dMMnl2o4AAdeBEjbX0"
	.size	.str.8, 31

	.type	.str.9,@object                  ; @.str.9
.str.9:
	.asciz	"mcropkaA234dmelmfhja44ndalomkfokdMDFK328"
	.size	.str.9, 41

	.type	.str.10,@object                 ; @.str.10
.str.10:
	.asciz	"udnekc8939MDkdnjj3knsdlmnekdlgJNls328419i905409dfm"
	.size	.str.10, 51

	.type	.str.11,@object                 ; @.str.11
.str.11:
	.asciz	"lfjweknm4349u34sdlk09j3mAADDSDkeffe575675fdvfLKMWMORMFREKLkl"
	.size	.str.11, 61

	.type	.str.12,@object                 ; @.str.12
.str.12:
	.asciz	"tid %u: %s imod = %d \n"
	.size	.str.12, 23

	.type	.str.13,@object                 ; @.str.13
.str.13:
	.asciz	"jheku83290dnmnd##9u9BJKHFJLKsMMMMdkejwejjj232indnfdmsnndnsdn****bsXxZz"
	.size	.str.13, 71

	.type	.str.14,@object                 ; @.str.14
.str.14:
	.asciz	"%s,%d,%s,%u,%s,%x,%s,%f,%s,%e\n"
	.size	.str.14, 31

	.type	.str.15,@object                 ; @.str.15
.str.15:
	.asciz	"%f, %f, %e, %e \n"
	.size	.str.15, 17

	.type	.str.16,@object                 ; @.str.16
.str.16:
	.asciz	"%a, %a, %A, %A \n"
	.size	.str.16, 17

	.type	.str.17,@object                 ; @.str.17
.str.17:
	.asciz	"%zu, %zu, %lli, %lli, %llu, %llu, %li, %li, %lu, %lu\n"
	.size	.str.17, 54

	.type	.str.18,@object                 ; @.str.18
.str.18:
	.asciz	"%zx, %zx, %llx, %llx, %llx, %llx, %lx, %lx, %lx, %lx\n"
	.size	.str.18, 54

	.type	.str.19,@object                 ; @.str.19
.str.19:
	.asciz	"%zX, %zX, %llX, %llX, %llX, %llX, %lX, %lX, %lX, %lX\n"
	.size	.str.19, 54

	.type	.str.20,@object                 ; @.str.20
.str.20:
	.asciz	"%zo, %zo, %llo, %llo, %llo, %llo, %lo, %lo, %lo, %lo\n"
	.size	.str.20, 54

	.type	.str.21,@object                 ; @.str.21
.str.21:
	.asciz	"%hd, %hd, %hu, %hu, %hhd, %hhd, %hhu, %hhu, %d, %d, %u, %u\n"
	.size	.str.21, 60

	.type	.str.22,@object                 ; @.str.22
.str.22:
	.asciz	"%hx, %hx, %hx, %hx, %hhx, %hhx, %hhx, %hhx, %x, %x, %x, %x\n"
	.size	.str.22, 60

	.type	.str.23,@object                 ; @.str.23
.str.23:
	.asciz	"%hX, %hX, %hX, %hX, %hhX, %hhX, %hhX, %hhX, %X, %X, %X, %X\n"
	.size	.str.23, 60

	.type	.str.24,@object                 ; @.str.24
.str.24:
	.asciz	"%ho, %ho, %ho, %ho, %hho, %hho, %hho, %hho, %o, %o, %o, %o\n"
	.size	.str.24, 60

	.type	.str.25,@object                 ; @.str.25
.str.25:
	.asciz	"%c, %c, %c, %c\n"
	.size	.str.25, 16

	.type	__hip_cuid_2edc51196a1f86d6,@object ; @__hip_cuid_2edc51196a1f86d6
	.section	.bss,"aw",@nobits
	.globl	__hip_cuid_2edc51196a1f86d6
__hip_cuid_2edc51196a1f86d6:
	.byte	0                               ; 0x0
	.size	__hip_cuid_2edc51196a1f86d6, 1

	.ident	"AMD clang version 22.0.0git (https://github.com/RadeonOpenCompute/llvm-project roc-7.2.4 26084 f58b06dce1f9c15707c5f808fd002e18c2accf7e)"
	.section	".note.GNU-stack","",@progbits
	.addrsig
	.addrsig_sym __hip_cuid_2edc51196a1f86d6
	.amdgpu_metadata
---
amdhsa.kernels:
  - .args:
      - .address_space:  global
        .offset:         0
        .size:           8
        .value_kind:     global_buffer
      - .address_space:  global
        .offset:         8
        .size:           8
        .value_kind:     global_buffer
      - .offset:         16
        .size:           4
        .value_kind:     by_value
      - .offset:         24
        .size:           4
        .value_kind:     hidden_block_count_x
      - .offset:         28
        .size:           4
        .value_kind:     hidden_block_count_y
      - .offset:         32
        .size:           4
        .value_kind:     hidden_block_count_z
      - .offset:         36
        .size:           2
        .value_kind:     hidden_group_size_x
      - .offset:         38
        .size:           2
        .value_kind:     hidden_group_size_y
      - .offset:         40
        .size:           2
        .value_kind:     hidden_group_size_z
      - .offset:         42
        .size:           2
        .value_kind:     hidden_remainder_x
      - .offset:         44
        .size:           2
        .value_kind:     hidden_remainder_y
      - .offset:         46
        .size:           2
        .value_kind:     hidden_remainder_z
      - .offset:         64
        .size:           8
        .value_kind:     hidden_global_offset_x
      - .offset:         72
        .size:           8
        .value_kind:     hidden_global_offset_y
      - .offset:         80
        .size:           8
        .value_kind:     hidden_global_offset_z
      - .offset:         88
        .size:           2
        .value_kind:     hidden_grid_dims
      - .offset:         104
        .size:           8
        .value_kind:     hidden_hostcall_buffer
    .group_segment_fixed_size: 0
    .kernarg_segment_align: 8
    .kernarg_segment_size: 280
    .language:       OpenCL C
    .language_version:
      - 2
      - 0
    .max_flat_workgroup_size: 1024
    .name:           _ZN19hipPrintfStressTest18kernel_complex_opXEPjS0_j
    .private_segment_fixed_size: 16
    .sgpr_count:     98
    .sgpr_spill_count: 0
    .symbol:         _ZN19hipPrintfStressTest18kernel_complex_opXEPjS0_j.kd
    .uniform_work_group_size: 1
    .uses_dynamic_stack: false
    .vgpr_count:     81
    .vgpr_spill_count: 0
    .wavefront_size: 32
  - .args:
      - .address_space:  global
        .offset:         0
        .size:           8
        .value_kind:     global_buffer
      - .address_space:  global
        .offset:         8
        .size:           8
        .value_kind:     global_buffer
      - .offset:         16
        .size:           4
        .value_kind:     by_value
      - .offset:         24
        .size:           4
        .value_kind:     hidden_block_count_x
      - .offset:         28
        .size:           4
        .value_kind:     hidden_block_count_y
      - .offset:         32
        .size:           4
        .value_kind:     hidden_block_count_z
      - .offset:         36
        .size:           2
        .value_kind:     hidden_group_size_x
      - .offset:         38
        .size:           2
        .value_kind:     hidden_group_size_y
      - .offset:         40
        .size:           2
        .value_kind:     hidden_group_size_z
      - .offset:         42
        .size:           2
        .value_kind:     hidden_remainder_x
      - .offset:         44
        .size:           2
        .value_kind:     hidden_remainder_y
      - .offset:         46
        .size:           2
        .value_kind:     hidden_remainder_z
      - .offset:         64
        .size:           8
        .value_kind:     hidden_global_offset_x
      - .offset:         72
        .size:           8
        .value_kind:     hidden_global_offset_y
      - .offset:         80
        .size:           8
        .value_kind:     hidden_global_offset_z
      - .offset:         88
        .size:           2
        .value_kind:     hidden_grid_dims
      - .offset:         104
        .size:           8
        .value_kind:     hidden_hostcall_buffer
    .group_segment_fixed_size: 0
    .kernarg_segment_align: 8
    .kernarg_segment_size: 280
    .language:       OpenCL C
    .language_version:
      - 2
      - 0
    .max_flat_workgroup_size: 1024
    .name:           _ZN19hipPrintfStressTest18kernel_complex_opYEPjS0_j
    .private_segment_fixed_size: 16
    .sgpr_count:     98
    .sgpr_spill_count: 0
    .symbol:         _ZN19hipPrintfStressTest18kernel_complex_opYEPjS0_j.kd
    .uniform_work_group_size: 1
    .uses_dynamic_stack: false
    .vgpr_count:     81
    .vgpr_spill_count: 0
    .wavefront_size: 32
  - .args:
      - .address_space:  global
        .offset:         0
        .size:           8
        .value_kind:     global_buffer
      - .address_space:  global
        .offset:         8
        .size:           8
        .value_kind:     global_buffer
      - .offset:         16
        .size:           4
        .value_kind:     by_value
      - .offset:         24
        .size:           4
        .value_kind:     hidden_block_count_x
      - .offset:         28
        .size:           4
        .value_kind:     hidden_block_count_y
      - .offset:         32
        .size:           4
        .value_kind:     hidden_block_count_z
      - .offset:         36
        .size:           2
        .value_kind:     hidden_group_size_x
      - .offset:         38
        .size:           2
        .value_kind:     hidden_group_size_y
      - .offset:         40
        .size:           2
        .value_kind:     hidden_group_size_z
      - .offset:         42
        .size:           2
        .value_kind:     hidden_remainder_x
      - .offset:         44
        .size:           2
        .value_kind:     hidden_remainder_y
      - .offset:         46
        .size:           2
        .value_kind:     hidden_remainder_z
      - .offset:         64
        .size:           8
        .value_kind:     hidden_global_offset_x
      - .offset:         72
        .size:           8
        .value_kind:     hidden_global_offset_y
      - .offset:         80
        .size:           8
        .value_kind:     hidden_global_offset_z
      - .offset:         88
        .size:           2
        .value_kind:     hidden_grid_dims
      - .offset:         104
        .size:           8
        .value_kind:     hidden_hostcall_buffer
    .group_segment_fixed_size: 0
    .kernarg_segment_align: 8
    .kernarg_segment_size: 280
    .language:       OpenCL C
    .language_version:
      - 2
      - 0
    .max_flat_workgroup_size: 1024
    .name:           _ZN19hipPrintfStressTest18kernel_complex_opZEPjS0_j
    .private_segment_fixed_size: 16
    .sgpr_count:     98
    .sgpr_spill_count: 0
    .symbol:         _ZN19hipPrintfStressTest18kernel_complex_opZEPjS0_j.kd
    .uniform_work_group_size: 1
    .uses_dynamic_stack: false
    .vgpr_count:     81
    .vgpr_spill_count: 0
    .wavefront_size: 32
amdhsa.target:   amdgcn-amd-amdhsa--gfx1250
amdhsa.version:
  - 1
  - 2
...

	.end_amdgpu_metadata
